;; amdgpu-corpus repo=ROCm/rocSPARSE kind=compiled arch=gfx1250 opt=O3
	.amdgcn_target "amdgcn-amd-amdhsa--gfx1250"
	.amdhsa_code_object_version 6
	.section	.text._ZN12_GLOBAL__N_129calculator_inverse_diagonal_tIfiiE23kernel_inverse_diagonalILj1024ELb0EEEviPKiPKf21rocsparse_index_base_PfS4_iS7_Pi,"axG",@progbits,_ZN12_GLOBAL__N_129calculator_inverse_diagonal_tIfiiE23kernel_inverse_diagonalILj1024ELb0EEEviPKiPKf21rocsparse_index_base_PfS4_iS7_Pi,comdat
	.globl	_ZN12_GLOBAL__N_129calculator_inverse_diagonal_tIfiiE23kernel_inverse_diagonalILj1024ELb0EEEviPKiPKf21rocsparse_index_base_PfS4_iS7_Pi ; -- Begin function _ZN12_GLOBAL__N_129calculator_inverse_diagonal_tIfiiE23kernel_inverse_diagonalILj1024ELb0EEEviPKiPKf21rocsparse_index_base_PfS4_iS7_Pi
	.p2align	8
	.type	_ZN12_GLOBAL__N_129calculator_inverse_diagonal_tIfiiE23kernel_inverse_diagonalILj1024ELb0EEEviPKiPKf21rocsparse_index_base_PfS4_iS7_Pi,@function
_ZN12_GLOBAL__N_129calculator_inverse_diagonal_tIfiiE23kernel_inverse_diagonalILj1024ELb0EEEviPKiPKf21rocsparse_index_base_PfS4_iS7_Pi: ; @_ZN12_GLOBAL__N_129calculator_inverse_diagonal_tIfiiE23kernel_inverse_diagonalILj1024ELb0EEEviPKiPKf21rocsparse_index_base_PfS4_iS7_Pi
; %bb.0:
	s_load_b32 s2, s[0:1], 0x0
	s_bfe_u32 s3, ttmp6, 0x4000c
	s_and_b32 s4, ttmp6, 15
	s_add_co_i32 s3, s3, 1
	s_getreg_b32 s5, hwreg(HW_REG_IB_STS2, 6, 4)
	s_mul_i32 s3, ttmp9, s3
	s_delay_alu instid0(SALU_CYCLE_1) | instskip(SKIP_2) | instid1(SALU_CYCLE_1)
	s_add_co_i32 s4, s4, s3
	s_cmp_eq_u32 s5, 0
	s_cselect_b32 s3, ttmp9, s4
	v_lshl_or_b32 v0, s3, 10, v0
	s_wait_kmcnt 0x0
	s_delay_alu instid0(VALU_DEP_1)
	v_cmp_gt_i32_e32 vcc_lo, s2, v0
	s_and_saveexec_b32 s2, vcc_lo
	s_cbranch_execz .LBB0_18
; %bb.1:
	s_clause 0x1
	s_load_b128 s[4:7], s[0:1], 0x28
	s_load_b64 s[2:3], s[0:1], 0x38
	s_wait_kmcnt 0x0
	global_load_b32 v1, v0, s[4:5] scale_offset
	s_wait_xcnt 0x0
	s_load_b64 s[4:5], s[0:1], 0x8
	s_sub_co_i32 s6, s6, s7
	s_load_b32 s7, s[0:1], 0x18
	s_wait_loadcnt 0x0
	v_add_nc_u32_e32 v2, s6, v1
	s_wait_kmcnt 0x0
	global_load_b32 v1, v2, s[4:5] scale_offset
	s_wait_xcnt 0x0
	s_mov_b32 s4, exec_lo
	s_wait_loadcnt 0x0
	v_subrev_nc_u32_e32 v3, s7, v1
	v_ashrrev_i32_e32 v1, 31, v0
	s_delay_alu instid0(VALU_DEP_2)
	v_cmpx_ne_u32_e64 v3, v0
	s_xor_b32 s4, exec_lo, s4
	s_cbranch_execz .LBB0_7
; %bb.2:
	v_add_nc_u32_e32 v2, s7, v0
	s_mov_b32 s6, exec_lo
	s_brev_b32 s5, -2
.LBB0_3:                                ; =>This Inner Loop Header: Depth=1
	s_ctz_i32_b32 s8, s6
	s_delay_alu instid0(VALU_DEP_1) | instid1(SALU_CYCLE_1)
	v_readlane_b32 s9, v2, s8
	s_lshl_b32 s8, 1, s8
	s_delay_alu instid0(SALU_CYCLE_1)
	s_and_not1_b32 s6, s6, s8
	s_min_i32 s5, s5, s9
	s_cmp_lg_u32 s6, 0
	s_cbranch_scc1 .LBB0_3
; %bb.4:
	v_mbcnt_lo_u32_b32 v2, exec_lo, 0
	s_mov_b32 s6, exec_lo
	s_delay_alu instid0(VALU_DEP_1)
	v_cmpx_eq_u32_e32 0, v2
	s_xor_b32 s6, exec_lo, s6
	s_cbranch_execz .LBB0_6
; %bb.5:
	v_dual_mov_b32 v2, 0 :: v_dual_mov_b32 v3, s5
	global_atomic_min_i32 v2, v3, s[2:3] scope:SCOPE_DEV
.LBB0_6:
	s_wait_xcnt 0x0
	s_or_b32 exec_lo, exec_lo, s6
                                        ; implicit-def: $vgpr2
.LBB0_7:
	s_or_saveexec_b32 s6, s4
	s_load_b64 s[4:5], s[0:1], 0x20
	v_mov_b32_e32 v3, 1.0
	s_xor_b32 exec_lo, exec_lo, s6
	s_cbranch_execz .LBB0_17
; %bb.8:
	s_wait_xcnt 0x0
	s_load_b64 s[0:1], s[0:1], 0x10
	v_ashrrev_i32_e32 v3, 31, v2
	s_wait_kmcnt 0x0
	s_delay_alu instid0(VALU_DEP_1)
	v_lshl_add_u64 v[2:3], v[2:3], 2, s[0:1]
	s_mov_b32 s0, exec_lo
	global_load_b32 v2, v[2:3], off
	s_wait_loadcnt 0x0
	v_cmpx_eq_f32_e32 0, v2
	s_xor_b32 s0, exec_lo, s0
	s_cbranch_execz .LBB0_14
; %bb.9:
	v_add_nc_u32_e32 v2, s7, v0
	s_mov_b32 s8, exec_lo
	s_brev_b32 s1, -2
.LBB0_10:                               ; =>This Inner Loop Header: Depth=1
	s_ctz_i32_b32 s7, s8
	s_delay_alu instid0(VALU_DEP_1) | instid1(SALU_CYCLE_1)
	v_readlane_b32 s9, v2, s7
	s_lshl_b32 s7, 1, s7
	s_delay_alu instid0(SALU_CYCLE_1)
	s_and_not1_b32 s8, s8, s7
	s_min_i32 s1, s1, s9
	s_cmp_lg_u32 s8, 0
	s_cbranch_scc1 .LBB0_10
; %bb.11:
	v_mbcnt_lo_u32_b32 v2, exec_lo, 0
	s_mov_b32 s7, exec_lo
	s_delay_alu instid0(VALU_DEP_1)
	v_cmpx_eq_u32_e32 0, v2
	s_xor_b32 s7, exec_lo, s7
	s_cbranch_execz .LBB0_13
; %bb.12:
	v_dual_mov_b32 v2, 0 :: v_dual_mov_b32 v3, s1
	global_atomic_min_i32 v2, v3, s[2:3] scope:SCOPE_DEV
.LBB0_13:
	s_wait_xcnt 0x0
	s_or_b32 exec_lo, exec_lo, s7
                                        ; implicit-def: $vgpr2
.LBB0_14:
	s_or_saveexec_b32 s0, s0
	v_mov_b32_e32 v3, 1.0
	s_xor_b32 exec_lo, exec_lo, s0
	s_cbranch_execz .LBB0_16
; %bb.15:
	v_div_scale_f32 v3, null, v2, v2, 1.0
	s_delay_alu instid0(VALU_DEP_1) | instskip(SKIP_1) | instid1(TRANS32_DEP_1)
	v_rcp_f32_e32 v4, v3
	v_nop
	v_fma_f32 v5, -v3, v4, 1.0
	s_delay_alu instid0(VALU_DEP_1) | instskip(SKIP_1) | instid1(VALU_DEP_1)
	v_fmac_f32_e32 v4, v5, v4
	v_div_scale_f32 v5, vcc_lo, 1.0, v2, 1.0
	v_mul_f32_e32 v6, v5, v4
	s_delay_alu instid0(VALU_DEP_1) | instskip(NEXT) | instid1(VALU_DEP_1)
	v_fma_f32 v7, -v3, v6, v5
	v_fmac_f32_e32 v6, v7, v4
	s_delay_alu instid0(VALU_DEP_1) | instskip(NEXT) | instid1(VALU_DEP_1)
	v_fma_f32 v3, -v3, v6, v5
	v_div_fmas_f32 v3, v3, v4, v6
	s_delay_alu instid0(VALU_DEP_1)
	v_div_fixup_f32 v3, v3, v2, 1.0
.LBB0_16:
	s_or_b32 exec_lo, exec_lo, s0
.LBB0_17:
	s_delay_alu instid0(SALU_CYCLE_1)
	s_or_b32 exec_lo, exec_lo, s6
	s_wait_kmcnt 0x0
	v_lshl_add_u64 v[0:1], v[0:1], 2, s[4:5]
	global_store_b32 v[0:1], v3, off
.LBB0_18:
	s_endpgm
	.section	.rodata,"a",@progbits
	.p2align	6, 0x0
	.amdhsa_kernel _ZN12_GLOBAL__N_129calculator_inverse_diagonal_tIfiiE23kernel_inverse_diagonalILj1024ELb0EEEviPKiPKf21rocsparse_index_base_PfS4_iS7_Pi
		.amdhsa_group_segment_fixed_size 0
		.amdhsa_private_segment_fixed_size 0
		.amdhsa_kernarg_size 64
		.amdhsa_user_sgpr_count 2
		.amdhsa_user_sgpr_dispatch_ptr 0
		.amdhsa_user_sgpr_queue_ptr 0
		.amdhsa_user_sgpr_kernarg_segment_ptr 1
		.amdhsa_user_sgpr_dispatch_id 0
		.amdhsa_user_sgpr_kernarg_preload_length 0
		.amdhsa_user_sgpr_kernarg_preload_offset 0
		.amdhsa_user_sgpr_private_segment_size 0
		.amdhsa_wavefront_size32 1
		.amdhsa_uses_dynamic_stack 0
		.amdhsa_enable_private_segment 0
		.amdhsa_system_sgpr_workgroup_id_x 1
		.amdhsa_system_sgpr_workgroup_id_y 0
		.amdhsa_system_sgpr_workgroup_id_z 0
		.amdhsa_system_sgpr_workgroup_info 0
		.amdhsa_system_vgpr_workitem_id 0
		.amdhsa_next_free_vgpr 8
		.amdhsa_next_free_sgpr 10
		.amdhsa_named_barrier_count 0
		.amdhsa_reserve_vcc 1
		.amdhsa_float_round_mode_32 0
		.amdhsa_float_round_mode_16_64 0
		.amdhsa_float_denorm_mode_32 3
		.amdhsa_float_denorm_mode_16_64 3
		.amdhsa_fp16_overflow 0
		.amdhsa_memory_ordered 1
		.amdhsa_forward_progress 1
		.amdhsa_inst_pref_size 6
		.amdhsa_round_robin_scheduling 0
		.amdhsa_exception_fp_ieee_invalid_op 0
		.amdhsa_exception_fp_denorm_src 0
		.amdhsa_exception_fp_ieee_div_zero 0
		.amdhsa_exception_fp_ieee_overflow 0
		.amdhsa_exception_fp_ieee_underflow 0
		.amdhsa_exception_fp_ieee_inexact 0
		.amdhsa_exception_int_div_zero 0
	.end_amdhsa_kernel
	.section	.text._ZN12_GLOBAL__N_129calculator_inverse_diagonal_tIfiiE23kernel_inverse_diagonalILj1024ELb0EEEviPKiPKf21rocsparse_index_base_PfS4_iS7_Pi,"axG",@progbits,_ZN12_GLOBAL__N_129calculator_inverse_diagonal_tIfiiE23kernel_inverse_diagonalILj1024ELb0EEEviPKiPKf21rocsparse_index_base_PfS4_iS7_Pi,comdat
.Lfunc_end0:
	.size	_ZN12_GLOBAL__N_129calculator_inverse_diagonal_tIfiiE23kernel_inverse_diagonalILj1024ELb0EEEviPKiPKf21rocsparse_index_base_PfS4_iS7_Pi, .Lfunc_end0-_ZN12_GLOBAL__N_129calculator_inverse_diagonal_tIfiiE23kernel_inverse_diagonalILj1024ELb0EEEviPKiPKf21rocsparse_index_base_PfS4_iS7_Pi
                                        ; -- End function
	.set _ZN12_GLOBAL__N_129calculator_inverse_diagonal_tIfiiE23kernel_inverse_diagonalILj1024ELb0EEEviPKiPKf21rocsparse_index_base_PfS4_iS7_Pi.num_vgpr, 8
	.set _ZN12_GLOBAL__N_129calculator_inverse_diagonal_tIfiiE23kernel_inverse_diagonalILj1024ELb0EEEviPKiPKf21rocsparse_index_base_PfS4_iS7_Pi.num_agpr, 0
	.set _ZN12_GLOBAL__N_129calculator_inverse_diagonal_tIfiiE23kernel_inverse_diagonalILj1024ELb0EEEviPKiPKf21rocsparse_index_base_PfS4_iS7_Pi.numbered_sgpr, 10
	.set _ZN12_GLOBAL__N_129calculator_inverse_diagonal_tIfiiE23kernel_inverse_diagonalILj1024ELb0EEEviPKiPKf21rocsparse_index_base_PfS4_iS7_Pi.num_named_barrier, 0
	.set _ZN12_GLOBAL__N_129calculator_inverse_diagonal_tIfiiE23kernel_inverse_diagonalILj1024ELb0EEEviPKiPKf21rocsparse_index_base_PfS4_iS7_Pi.private_seg_size, 0
	.set _ZN12_GLOBAL__N_129calculator_inverse_diagonal_tIfiiE23kernel_inverse_diagonalILj1024ELb0EEEviPKiPKf21rocsparse_index_base_PfS4_iS7_Pi.uses_vcc, 1
	.set _ZN12_GLOBAL__N_129calculator_inverse_diagonal_tIfiiE23kernel_inverse_diagonalILj1024ELb0EEEviPKiPKf21rocsparse_index_base_PfS4_iS7_Pi.uses_flat_scratch, 0
	.set _ZN12_GLOBAL__N_129calculator_inverse_diagonal_tIfiiE23kernel_inverse_diagonalILj1024ELb0EEEviPKiPKf21rocsparse_index_base_PfS4_iS7_Pi.has_dyn_sized_stack, 0
	.set _ZN12_GLOBAL__N_129calculator_inverse_diagonal_tIfiiE23kernel_inverse_diagonalILj1024ELb0EEEviPKiPKf21rocsparse_index_base_PfS4_iS7_Pi.has_recursion, 0
	.set _ZN12_GLOBAL__N_129calculator_inverse_diagonal_tIfiiE23kernel_inverse_diagonalILj1024ELb0EEEviPKiPKf21rocsparse_index_base_PfS4_iS7_Pi.has_indirect_call, 0
	.section	.AMDGPU.csdata,"",@progbits
; Kernel info:
; codeLenInByte = 656
; TotalNumSgprs: 12
; NumVgprs: 8
; ScratchSize: 0
; MemoryBound: 0
; FloatMode: 240
; IeeeMode: 1
; LDSByteSize: 0 bytes/workgroup (compile time only)
; SGPRBlocks: 0
; VGPRBlocks: 0
; NumSGPRsForWavesPerEU: 12
; NumVGPRsForWavesPerEU: 8
; NamedBarCnt: 0
; Occupancy: 16
; WaveLimiterHint : 1
; COMPUTE_PGM_RSRC2:SCRATCH_EN: 0
; COMPUTE_PGM_RSRC2:USER_SGPR: 2
; COMPUTE_PGM_RSRC2:TRAP_HANDLER: 0
; COMPUTE_PGM_RSRC2:TGID_X_EN: 1
; COMPUTE_PGM_RSRC2:TGID_Y_EN: 0
; COMPUTE_PGM_RSRC2:TGID_Z_EN: 0
; COMPUTE_PGM_RSRC2:TIDIG_COMP_CNT: 0
	.section	.text._ZN12_GLOBAL__N_129calculator_inverse_diagonal_tIfiiE23kernel_inverse_diagonalILj1024ELb1EEEviPKiPKf21rocsparse_index_base_PfS4_iS7_Pi,"axG",@progbits,_ZN12_GLOBAL__N_129calculator_inverse_diagonal_tIfiiE23kernel_inverse_diagonalILj1024ELb1EEEviPKiPKf21rocsparse_index_base_PfS4_iS7_Pi,comdat
	.globl	_ZN12_GLOBAL__N_129calculator_inverse_diagonal_tIfiiE23kernel_inverse_diagonalILj1024ELb1EEEviPKiPKf21rocsparse_index_base_PfS4_iS7_Pi ; -- Begin function _ZN12_GLOBAL__N_129calculator_inverse_diagonal_tIfiiE23kernel_inverse_diagonalILj1024ELb1EEEviPKiPKf21rocsparse_index_base_PfS4_iS7_Pi
	.p2align	8
	.type	_ZN12_GLOBAL__N_129calculator_inverse_diagonal_tIfiiE23kernel_inverse_diagonalILj1024ELb1EEEviPKiPKf21rocsparse_index_base_PfS4_iS7_Pi,@function
_ZN12_GLOBAL__N_129calculator_inverse_diagonal_tIfiiE23kernel_inverse_diagonalILj1024ELb1EEEviPKiPKf21rocsparse_index_base_PfS4_iS7_Pi: ; @_ZN12_GLOBAL__N_129calculator_inverse_diagonal_tIfiiE23kernel_inverse_diagonalILj1024ELb1EEEviPKiPKf21rocsparse_index_base_PfS4_iS7_Pi
; %bb.0:
	s_load_b32 s2, s[0:1], 0x0
	s_bfe_u32 s3, ttmp6, 0x4000c
	s_and_b32 s4, ttmp6, 15
	s_add_co_i32 s3, s3, 1
	s_getreg_b32 s5, hwreg(HW_REG_IB_STS2, 6, 4)
	s_mul_i32 s3, ttmp9, s3
	s_delay_alu instid0(SALU_CYCLE_1) | instskip(SKIP_2) | instid1(SALU_CYCLE_1)
	s_add_co_i32 s4, s4, s3
	s_cmp_eq_u32 s5, 0
	s_cselect_b32 s3, ttmp9, s4
	v_lshl_or_b32 v0, s3, 10, v0
	s_wait_kmcnt 0x0
	s_delay_alu instid0(VALU_DEP_1)
	v_cmp_gt_i32_e32 vcc_lo, s2, v0
	s_and_saveexec_b32 s2, vcc_lo
	s_cbranch_execz .LBB1_18
; %bb.1:
	s_clause 0x1
	s_load_b128 s[4:7], s[0:1], 0x28
	s_load_b64 s[2:3], s[0:1], 0x38
	s_wait_kmcnt 0x0
	global_load_b32 v1, v0, s[4:5] scale_offset
	s_wait_xcnt 0x0
	s_load_b64 s[4:5], s[0:1], 0x8
	s_sub_co_i32 s6, s6, s7
	s_load_b32 s7, s[0:1], 0x18
	s_wait_loadcnt 0x0
	v_add_nc_u32_e32 v2, s6, v1
	s_wait_kmcnt 0x0
	global_load_b32 v1, v2, s[4:5] scale_offset
	s_wait_xcnt 0x0
	s_mov_b32 s4, exec_lo
	s_wait_loadcnt 0x0
	v_subrev_nc_u32_e32 v3, s7, v1
	v_ashrrev_i32_e32 v1, 31, v0
	s_delay_alu instid0(VALU_DEP_2)
	v_cmpx_ne_u32_e64 v3, v0
	s_xor_b32 s4, exec_lo, s4
	s_cbranch_execz .LBB1_7
; %bb.2:
	v_add_nc_u32_e32 v2, s7, v0
	s_mov_b32 s6, exec_lo
	s_brev_b32 s5, -2
.LBB1_3:                                ; =>This Inner Loop Header: Depth=1
	s_ctz_i32_b32 s8, s6
	s_delay_alu instid0(VALU_DEP_1) | instid1(SALU_CYCLE_1)
	v_readlane_b32 s9, v2, s8
	s_lshl_b32 s8, 1, s8
	s_delay_alu instid0(SALU_CYCLE_1)
	s_and_not1_b32 s6, s6, s8
	s_min_i32 s5, s5, s9
	s_cmp_lg_u32 s6, 0
	s_cbranch_scc1 .LBB1_3
; %bb.4:
	v_mbcnt_lo_u32_b32 v2, exec_lo, 0
	s_mov_b32 s6, exec_lo
	s_delay_alu instid0(VALU_DEP_1)
	v_cmpx_eq_u32_e32 0, v2
	s_xor_b32 s6, exec_lo, s6
	s_cbranch_execz .LBB1_6
; %bb.5:
	v_dual_mov_b32 v2, 0 :: v_dual_mov_b32 v3, s5
	global_atomic_min_i32 v2, v3, s[2:3] scope:SCOPE_DEV
.LBB1_6:
	s_wait_xcnt 0x0
	s_or_b32 exec_lo, exec_lo, s6
                                        ; implicit-def: $vgpr2
.LBB1_7:
	s_or_saveexec_b32 s6, s4
	s_load_b64 s[4:5], s[0:1], 0x20
	v_mov_b32_e32 v3, 1.0
	s_xor_b32 exec_lo, exec_lo, s6
	s_cbranch_execz .LBB1_17
; %bb.8:
	s_wait_xcnt 0x0
	s_load_b64 s[0:1], s[0:1], 0x10
	v_ashrrev_i32_e32 v3, 31, v2
	s_wait_kmcnt 0x0
	s_delay_alu instid0(VALU_DEP_1)
	v_lshl_add_u64 v[2:3], v[2:3], 2, s[0:1]
	s_mov_b32 s0, exec_lo
	global_load_b32 v2, v[2:3], off
	s_wait_loadcnt 0x0
	v_cmpx_eq_f32_e32 0, v2
	s_xor_b32 s0, exec_lo, s0
	s_cbranch_execz .LBB1_14
; %bb.9:
	v_add_nc_u32_e32 v2, s7, v0
	s_mov_b32 s8, exec_lo
	s_brev_b32 s1, -2
.LBB1_10:                               ; =>This Inner Loop Header: Depth=1
	s_ctz_i32_b32 s7, s8
	s_delay_alu instid0(VALU_DEP_1) | instid1(SALU_CYCLE_1)
	v_readlane_b32 s9, v2, s7
	s_lshl_b32 s7, 1, s7
	s_delay_alu instid0(SALU_CYCLE_1)
	s_and_not1_b32 s8, s8, s7
	s_min_i32 s1, s1, s9
	s_cmp_lg_u32 s8, 0
	s_cbranch_scc1 .LBB1_10
; %bb.11:
	v_mbcnt_lo_u32_b32 v2, exec_lo, 0
	s_mov_b32 s7, exec_lo
	s_delay_alu instid0(VALU_DEP_1)
	v_cmpx_eq_u32_e32 0, v2
	s_xor_b32 s7, exec_lo, s7
	s_cbranch_execz .LBB1_13
; %bb.12:
	v_dual_mov_b32 v2, 0 :: v_dual_mov_b32 v3, s1
	global_atomic_min_i32 v2, v3, s[2:3] scope:SCOPE_DEV
.LBB1_13:
	s_wait_xcnt 0x0
	s_or_b32 exec_lo, exec_lo, s7
                                        ; implicit-def: $vgpr2
.LBB1_14:
	s_or_saveexec_b32 s0, s0
	v_mov_b32_e32 v3, 1.0
	s_xor_b32 exec_lo, exec_lo, s0
	s_cbranch_execz .LBB1_16
; %bb.15:
	v_div_scale_f32 v3, null, v2, v2, 1.0
	s_delay_alu instid0(VALU_DEP_1) | instskip(SKIP_1) | instid1(TRANS32_DEP_1)
	v_rcp_f32_e32 v4, v3
	v_nop
	v_fma_f32 v5, -v3, v4, 1.0
	s_delay_alu instid0(VALU_DEP_1) | instskip(SKIP_1) | instid1(VALU_DEP_1)
	v_fmac_f32_e32 v4, v5, v4
	v_div_scale_f32 v5, vcc_lo, 1.0, v2, 1.0
	v_mul_f32_e32 v6, v5, v4
	s_delay_alu instid0(VALU_DEP_1) | instskip(NEXT) | instid1(VALU_DEP_1)
	v_fma_f32 v7, -v3, v6, v5
	v_fmac_f32_e32 v6, v7, v4
	s_delay_alu instid0(VALU_DEP_1) | instskip(NEXT) | instid1(VALU_DEP_1)
	v_fma_f32 v3, -v3, v6, v5
	v_div_fmas_f32 v3, v3, v4, v6
	s_delay_alu instid0(VALU_DEP_1)
	v_div_fixup_f32 v3, v3, v2, 1.0
.LBB1_16:
	s_or_b32 exec_lo, exec_lo, s0
.LBB1_17:
	s_delay_alu instid0(SALU_CYCLE_1)
	s_or_b32 exec_lo, exec_lo, s6
	s_wait_kmcnt 0x0
	v_lshl_add_u64 v[0:1], v[0:1], 2, s[4:5]
	global_store_b32 v[0:1], v3, off
.LBB1_18:
	s_endpgm
	.section	.rodata,"a",@progbits
	.p2align	6, 0x0
	.amdhsa_kernel _ZN12_GLOBAL__N_129calculator_inverse_diagonal_tIfiiE23kernel_inverse_diagonalILj1024ELb1EEEviPKiPKf21rocsparse_index_base_PfS4_iS7_Pi
		.amdhsa_group_segment_fixed_size 0
		.amdhsa_private_segment_fixed_size 0
		.amdhsa_kernarg_size 64
		.amdhsa_user_sgpr_count 2
		.amdhsa_user_sgpr_dispatch_ptr 0
		.amdhsa_user_sgpr_queue_ptr 0
		.amdhsa_user_sgpr_kernarg_segment_ptr 1
		.amdhsa_user_sgpr_dispatch_id 0
		.amdhsa_user_sgpr_kernarg_preload_length 0
		.amdhsa_user_sgpr_kernarg_preload_offset 0
		.amdhsa_user_sgpr_private_segment_size 0
		.amdhsa_wavefront_size32 1
		.amdhsa_uses_dynamic_stack 0
		.amdhsa_enable_private_segment 0
		.amdhsa_system_sgpr_workgroup_id_x 1
		.amdhsa_system_sgpr_workgroup_id_y 0
		.amdhsa_system_sgpr_workgroup_id_z 0
		.amdhsa_system_sgpr_workgroup_info 0
		.amdhsa_system_vgpr_workitem_id 0
		.amdhsa_next_free_vgpr 8
		.amdhsa_next_free_sgpr 10
		.amdhsa_named_barrier_count 0
		.amdhsa_reserve_vcc 1
		.amdhsa_float_round_mode_32 0
		.amdhsa_float_round_mode_16_64 0
		.amdhsa_float_denorm_mode_32 3
		.amdhsa_float_denorm_mode_16_64 3
		.amdhsa_fp16_overflow 0
		.amdhsa_memory_ordered 1
		.amdhsa_forward_progress 1
		.amdhsa_inst_pref_size 6
		.amdhsa_round_robin_scheduling 0
		.amdhsa_exception_fp_ieee_invalid_op 0
		.amdhsa_exception_fp_denorm_src 0
		.amdhsa_exception_fp_ieee_div_zero 0
		.amdhsa_exception_fp_ieee_overflow 0
		.amdhsa_exception_fp_ieee_underflow 0
		.amdhsa_exception_fp_ieee_inexact 0
		.amdhsa_exception_int_div_zero 0
	.end_amdhsa_kernel
	.section	.text._ZN12_GLOBAL__N_129calculator_inverse_diagonal_tIfiiE23kernel_inverse_diagonalILj1024ELb1EEEviPKiPKf21rocsparse_index_base_PfS4_iS7_Pi,"axG",@progbits,_ZN12_GLOBAL__N_129calculator_inverse_diagonal_tIfiiE23kernel_inverse_diagonalILj1024ELb1EEEviPKiPKf21rocsparse_index_base_PfS4_iS7_Pi,comdat
.Lfunc_end1:
	.size	_ZN12_GLOBAL__N_129calculator_inverse_diagonal_tIfiiE23kernel_inverse_diagonalILj1024ELb1EEEviPKiPKf21rocsparse_index_base_PfS4_iS7_Pi, .Lfunc_end1-_ZN12_GLOBAL__N_129calculator_inverse_diagonal_tIfiiE23kernel_inverse_diagonalILj1024ELb1EEEviPKiPKf21rocsparse_index_base_PfS4_iS7_Pi
                                        ; -- End function
	.set _ZN12_GLOBAL__N_129calculator_inverse_diagonal_tIfiiE23kernel_inverse_diagonalILj1024ELb1EEEviPKiPKf21rocsparse_index_base_PfS4_iS7_Pi.num_vgpr, 8
	.set _ZN12_GLOBAL__N_129calculator_inverse_diagonal_tIfiiE23kernel_inverse_diagonalILj1024ELb1EEEviPKiPKf21rocsparse_index_base_PfS4_iS7_Pi.num_agpr, 0
	.set _ZN12_GLOBAL__N_129calculator_inverse_diagonal_tIfiiE23kernel_inverse_diagonalILj1024ELb1EEEviPKiPKf21rocsparse_index_base_PfS4_iS7_Pi.numbered_sgpr, 10
	.set _ZN12_GLOBAL__N_129calculator_inverse_diagonal_tIfiiE23kernel_inverse_diagonalILj1024ELb1EEEviPKiPKf21rocsparse_index_base_PfS4_iS7_Pi.num_named_barrier, 0
	.set _ZN12_GLOBAL__N_129calculator_inverse_diagonal_tIfiiE23kernel_inverse_diagonalILj1024ELb1EEEviPKiPKf21rocsparse_index_base_PfS4_iS7_Pi.private_seg_size, 0
	.set _ZN12_GLOBAL__N_129calculator_inverse_diagonal_tIfiiE23kernel_inverse_diagonalILj1024ELb1EEEviPKiPKf21rocsparse_index_base_PfS4_iS7_Pi.uses_vcc, 1
	.set _ZN12_GLOBAL__N_129calculator_inverse_diagonal_tIfiiE23kernel_inverse_diagonalILj1024ELb1EEEviPKiPKf21rocsparse_index_base_PfS4_iS7_Pi.uses_flat_scratch, 0
	.set _ZN12_GLOBAL__N_129calculator_inverse_diagonal_tIfiiE23kernel_inverse_diagonalILj1024ELb1EEEviPKiPKf21rocsparse_index_base_PfS4_iS7_Pi.has_dyn_sized_stack, 0
	.set _ZN12_GLOBAL__N_129calculator_inverse_diagonal_tIfiiE23kernel_inverse_diagonalILj1024ELb1EEEviPKiPKf21rocsparse_index_base_PfS4_iS7_Pi.has_recursion, 0
	.set _ZN12_GLOBAL__N_129calculator_inverse_diagonal_tIfiiE23kernel_inverse_diagonalILj1024ELb1EEEviPKiPKf21rocsparse_index_base_PfS4_iS7_Pi.has_indirect_call, 0
	.section	.AMDGPU.csdata,"",@progbits
; Kernel info:
; codeLenInByte = 656
; TotalNumSgprs: 12
; NumVgprs: 8
; ScratchSize: 0
; MemoryBound: 0
; FloatMode: 240
; IeeeMode: 1
; LDSByteSize: 0 bytes/workgroup (compile time only)
; SGPRBlocks: 0
; VGPRBlocks: 0
; NumSGPRsForWavesPerEU: 12
; NumVGPRsForWavesPerEU: 8
; NamedBarCnt: 0
; Occupancy: 16
; WaveLimiterHint : 1
; COMPUTE_PGM_RSRC2:SCRATCH_EN: 0
; COMPUTE_PGM_RSRC2:USER_SGPR: 2
; COMPUTE_PGM_RSRC2:TRAP_HANDLER: 0
; COMPUTE_PGM_RSRC2:TGID_X_EN: 1
; COMPUTE_PGM_RSRC2:TGID_Y_EN: 0
; COMPUTE_PGM_RSRC2:TGID_Z_EN: 0
; COMPUTE_PGM_RSRC2:TIDIG_COMP_CNT: 0
	.section	.text._ZN9rocsparseL26kernel_add_scaled_residualILj1024EifEEvT0_PKT1_PS2_S4_,"axG",@progbits,_ZN9rocsparseL26kernel_add_scaled_residualILj1024EifEEvT0_PKT1_PS2_S4_,comdat
	.globl	_ZN9rocsparseL26kernel_add_scaled_residualILj1024EifEEvT0_PKT1_PS2_S4_ ; -- Begin function _ZN9rocsparseL26kernel_add_scaled_residualILj1024EifEEvT0_PKT1_PS2_S4_
	.p2align	8
	.type	_ZN9rocsparseL26kernel_add_scaled_residualILj1024EifEEvT0_PKT1_PS2_S4_,@function
_ZN9rocsparseL26kernel_add_scaled_residualILj1024EifEEvT0_PKT1_PS2_S4_: ; @_ZN9rocsparseL26kernel_add_scaled_residualILj1024EifEEvT0_PKT1_PS2_S4_
; %bb.0:
	s_load_b32 s2, s[0:1], 0x0
	s_bfe_u32 s3, ttmp6, 0x4000c
	s_and_b32 s4, ttmp6, 15
	s_add_co_i32 s3, s3, 1
	s_getreg_b32 s5, hwreg(HW_REG_IB_STS2, 6, 4)
	s_mul_i32 s3, ttmp9, s3
	s_delay_alu instid0(SALU_CYCLE_1) | instskip(SKIP_2) | instid1(SALU_CYCLE_1)
	s_add_co_i32 s4, s4, s3
	s_cmp_eq_u32 s5, 0
	s_cselect_b32 s3, ttmp9, s4
	v_lshl_or_b32 v0, s3, 10, v0
	s_wait_kmcnt 0x0
	s_delay_alu instid0(VALU_DEP_1)
	v_cmp_gt_u32_e32 vcc_lo, s2, v0
	s_and_saveexec_b32 s2, vcc_lo
	s_cbranch_execz .LBB2_2
; %bb.1:
	s_clause 0x1
	s_load_b128 s[4:7], s[0:1], 0x8
	s_load_b64 s[2:3], s[0:1], 0x18
	s_wait_kmcnt 0x0
	s_clause 0x2
	global_load_b32 v1, v0, s[6:7] scale_offset
	global_load_b32 v2, v0, s[4:5] scale_offset
	;; [unrolled: 1-line block ×3, first 2 shown]
	s_wait_loadcnt 0x0
	v_fmac_f32_e32 v1, v3, v2
	global_store_b32 v0, v1, s[6:7] scale_offset
.LBB2_2:
	s_endpgm
	.section	.rodata,"a",@progbits
	.p2align	6, 0x0
	.amdhsa_kernel _ZN9rocsparseL26kernel_add_scaled_residualILj1024EifEEvT0_PKT1_PS2_S4_
		.amdhsa_group_segment_fixed_size 0
		.amdhsa_private_segment_fixed_size 0
		.amdhsa_kernarg_size 32
		.amdhsa_user_sgpr_count 2
		.amdhsa_user_sgpr_dispatch_ptr 0
		.amdhsa_user_sgpr_queue_ptr 0
		.amdhsa_user_sgpr_kernarg_segment_ptr 1
		.amdhsa_user_sgpr_dispatch_id 0
		.amdhsa_user_sgpr_kernarg_preload_length 0
		.amdhsa_user_sgpr_kernarg_preload_offset 0
		.amdhsa_user_sgpr_private_segment_size 0
		.amdhsa_wavefront_size32 1
		.amdhsa_uses_dynamic_stack 0
		.amdhsa_enable_private_segment 0
		.amdhsa_system_sgpr_workgroup_id_x 1
		.amdhsa_system_sgpr_workgroup_id_y 0
		.amdhsa_system_sgpr_workgroup_id_z 0
		.amdhsa_system_sgpr_workgroup_info 0
		.amdhsa_system_vgpr_workitem_id 0
		.amdhsa_next_free_vgpr 4
		.amdhsa_next_free_sgpr 8
		.amdhsa_named_barrier_count 0
		.amdhsa_reserve_vcc 1
		.amdhsa_float_round_mode_32 0
		.amdhsa_float_round_mode_16_64 0
		.amdhsa_float_denorm_mode_32 3
		.amdhsa_float_denorm_mode_16_64 3
		.amdhsa_fp16_overflow 0
		.amdhsa_memory_ordered 1
		.amdhsa_forward_progress 1
		.amdhsa_inst_pref_size 2
		.amdhsa_round_robin_scheduling 0
		.amdhsa_exception_fp_ieee_invalid_op 0
		.amdhsa_exception_fp_denorm_src 0
		.amdhsa_exception_fp_ieee_div_zero 0
		.amdhsa_exception_fp_ieee_overflow 0
		.amdhsa_exception_fp_ieee_underflow 0
		.amdhsa_exception_fp_ieee_inexact 0
		.amdhsa_exception_int_div_zero 0
	.end_amdhsa_kernel
	.section	.text._ZN9rocsparseL26kernel_add_scaled_residualILj1024EifEEvT0_PKT1_PS2_S4_,"axG",@progbits,_ZN9rocsparseL26kernel_add_scaled_residualILj1024EifEEvT0_PKT1_PS2_S4_,comdat
.Lfunc_end2:
	.size	_ZN9rocsparseL26kernel_add_scaled_residualILj1024EifEEvT0_PKT1_PS2_S4_, .Lfunc_end2-_ZN9rocsparseL26kernel_add_scaled_residualILj1024EifEEvT0_PKT1_PS2_S4_
                                        ; -- End function
	.set _ZN9rocsparseL26kernel_add_scaled_residualILj1024EifEEvT0_PKT1_PS2_S4_.num_vgpr, 4
	.set _ZN9rocsparseL26kernel_add_scaled_residualILj1024EifEEvT0_PKT1_PS2_S4_.num_agpr, 0
	.set _ZN9rocsparseL26kernel_add_scaled_residualILj1024EifEEvT0_PKT1_PS2_S4_.numbered_sgpr, 8
	.set _ZN9rocsparseL26kernel_add_scaled_residualILj1024EifEEvT0_PKT1_PS2_S4_.num_named_barrier, 0
	.set _ZN9rocsparseL26kernel_add_scaled_residualILj1024EifEEvT0_PKT1_PS2_S4_.private_seg_size, 0
	.set _ZN9rocsparseL26kernel_add_scaled_residualILj1024EifEEvT0_PKT1_PS2_S4_.uses_vcc, 1
	.set _ZN9rocsparseL26kernel_add_scaled_residualILj1024EifEEvT0_PKT1_PS2_S4_.uses_flat_scratch, 0
	.set _ZN9rocsparseL26kernel_add_scaled_residualILj1024EifEEvT0_PKT1_PS2_S4_.has_dyn_sized_stack, 0
	.set _ZN9rocsparseL26kernel_add_scaled_residualILj1024EifEEvT0_PKT1_PS2_S4_.has_recursion, 0
	.set _ZN9rocsparseL26kernel_add_scaled_residualILj1024EifEEvT0_PKT1_PS2_S4_.has_indirect_call, 0
	.section	.AMDGPU.csdata,"",@progbits
; Kernel info:
; codeLenInByte = 164
; TotalNumSgprs: 10
; NumVgprs: 4
; ScratchSize: 0
; MemoryBound: 0
; FloatMode: 240
; IeeeMode: 1
; LDSByteSize: 0 bytes/workgroup (compile time only)
; SGPRBlocks: 0
; VGPRBlocks: 0
; NumSGPRsForWavesPerEU: 10
; NumVGPRsForWavesPerEU: 4
; NamedBarCnt: 0
; Occupancy: 16
; WaveLimiterHint : 0
; COMPUTE_PGM_RSRC2:SCRATCH_EN: 0
; COMPUTE_PGM_RSRC2:USER_SGPR: 2
; COMPUTE_PGM_RSRC2:TRAP_HANDLER: 0
; COMPUTE_PGM_RSRC2:TGID_X_EN: 1
; COMPUTE_PGM_RSRC2:TGID_Y_EN: 0
; COMPUTE_PGM_RSRC2:TGID_Z_EN: 0
; COMPUTE_PGM_RSRC2:TIDIG_COMP_CNT: 0
	.section	.text._ZN12_GLOBAL__N_129calculator_inverse_diagonal_tIdiiE23kernel_inverse_diagonalILj1024ELb0EEEviPKiPKd21rocsparse_index_base_PdS4_iS7_Pi,"axG",@progbits,_ZN12_GLOBAL__N_129calculator_inverse_diagonal_tIdiiE23kernel_inverse_diagonalILj1024ELb0EEEviPKiPKd21rocsparse_index_base_PdS4_iS7_Pi,comdat
	.globl	_ZN12_GLOBAL__N_129calculator_inverse_diagonal_tIdiiE23kernel_inverse_diagonalILj1024ELb0EEEviPKiPKd21rocsparse_index_base_PdS4_iS7_Pi ; -- Begin function _ZN12_GLOBAL__N_129calculator_inverse_diagonal_tIdiiE23kernel_inverse_diagonalILj1024ELb0EEEviPKiPKd21rocsparse_index_base_PdS4_iS7_Pi
	.p2align	8
	.type	_ZN12_GLOBAL__N_129calculator_inverse_diagonal_tIdiiE23kernel_inverse_diagonalILj1024ELb0EEEviPKiPKd21rocsparse_index_base_PdS4_iS7_Pi,@function
_ZN12_GLOBAL__N_129calculator_inverse_diagonal_tIdiiE23kernel_inverse_diagonalILj1024ELb0EEEviPKiPKd21rocsparse_index_base_PdS4_iS7_Pi: ; @_ZN12_GLOBAL__N_129calculator_inverse_diagonal_tIdiiE23kernel_inverse_diagonalILj1024ELb0EEEviPKiPKd21rocsparse_index_base_PdS4_iS7_Pi
; %bb.0:
	s_load_b32 s2, s[0:1], 0x0
	s_bfe_u32 s3, ttmp6, 0x4000c
	s_and_b32 s4, ttmp6, 15
	s_add_co_i32 s3, s3, 1
	s_getreg_b32 s5, hwreg(HW_REG_IB_STS2, 6, 4)
	s_mul_i32 s3, ttmp9, s3
	s_delay_alu instid0(SALU_CYCLE_1) | instskip(SKIP_2) | instid1(SALU_CYCLE_1)
	s_add_co_i32 s4, s4, s3
	s_cmp_eq_u32 s5, 0
	s_cselect_b32 s3, ttmp9, s4
	v_lshl_or_b32 v0, s3, 10, v0
	s_wait_kmcnt 0x0
	s_delay_alu instid0(VALU_DEP_1)
	v_cmp_gt_i32_e32 vcc_lo, s2, v0
	s_and_saveexec_b32 s2, vcc_lo
	s_cbranch_execz .LBB3_18
; %bb.1:
	s_clause 0x1
	s_load_b128 s[4:7], s[0:1], 0x28
	s_load_b64 s[2:3], s[0:1], 0x38
	s_wait_kmcnt 0x0
	global_load_b32 v1, v0, s[4:5] scale_offset
	s_wait_xcnt 0x0
	s_load_b64 s[4:5], s[0:1], 0x8
	s_sub_co_i32 s6, s6, s7
	s_load_b32 s7, s[0:1], 0x18
	s_wait_loadcnt 0x0
	v_add_nc_u32_e32 v2, s6, v1
	s_wait_kmcnt 0x0
	global_load_b32 v1, v2, s[4:5] scale_offset
	s_wait_xcnt 0x0
	s_mov_b32 s4, exec_lo
	s_wait_loadcnt 0x0
	v_subrev_nc_u32_e32 v3, s7, v1
	v_ashrrev_i32_e32 v1, 31, v0
	s_delay_alu instid0(VALU_DEP_2)
	v_cmpx_ne_u32_e64 v3, v0
	s_xor_b32 s4, exec_lo, s4
	s_cbranch_execz .LBB3_7
; %bb.2:
	v_add_nc_u32_e32 v2, s7, v0
	s_mov_b32 s6, exec_lo
	s_brev_b32 s5, -2
.LBB3_3:                                ; =>This Inner Loop Header: Depth=1
	s_ctz_i32_b32 s8, s6
	s_delay_alu instid0(VALU_DEP_1) | instid1(SALU_CYCLE_1)
	v_readlane_b32 s9, v2, s8
	s_lshl_b32 s8, 1, s8
	s_delay_alu instid0(SALU_CYCLE_1)
	s_and_not1_b32 s6, s6, s8
	s_min_i32 s5, s5, s9
	s_cmp_lg_u32 s6, 0
	s_cbranch_scc1 .LBB3_3
; %bb.4:
	v_mbcnt_lo_u32_b32 v2, exec_lo, 0
	s_mov_b32 s6, exec_lo
	s_delay_alu instid0(VALU_DEP_1)
	v_cmpx_eq_u32_e32 0, v2
	s_xor_b32 s6, exec_lo, s6
	s_cbranch_execz .LBB3_6
; %bb.5:
	v_dual_mov_b32 v2, 0 :: v_dual_mov_b32 v3, s5
	global_atomic_min_i32 v2, v3, s[2:3] scope:SCOPE_DEV
.LBB3_6:
	s_wait_xcnt 0x0
	s_or_b32 exec_lo, exec_lo, s6
                                        ; implicit-def: $vgpr2
.LBB3_7:
	s_or_saveexec_b32 s6, s4
	s_load_b64 s[4:5], s[0:1], 0x20
	v_mov_b64_e32 v[4:5], 1.0
	s_xor_b32 exec_lo, exec_lo, s6
	s_cbranch_execz .LBB3_17
; %bb.8:
	s_wait_xcnt 0x0
	s_load_b64 s[0:1], s[0:1], 0x10
	v_ashrrev_i32_e32 v3, 31, v2
	s_wait_kmcnt 0x0
	s_delay_alu instid0(VALU_DEP_1)
	v_lshl_add_u64 v[2:3], v[2:3], 3, s[0:1]
	s_mov_b32 s0, exec_lo
	global_load_b64 v[2:3], v[2:3], off
	s_wait_loadcnt 0x0
	v_cmpx_eq_f64_e32 0, v[2:3]
	s_xor_b32 s0, exec_lo, s0
	s_cbranch_execz .LBB3_14
; %bb.9:
	v_add_nc_u32_e32 v2, s7, v0
	s_mov_b32 s8, exec_lo
	s_brev_b32 s1, -2
.LBB3_10:                               ; =>This Inner Loop Header: Depth=1
	s_ctz_i32_b32 s7, s8
	s_delay_alu instid0(VALU_DEP_1) | instid1(SALU_CYCLE_1)
	v_readlane_b32 s9, v2, s7
	s_lshl_b32 s7, 1, s7
	s_delay_alu instid0(SALU_CYCLE_1)
	s_and_not1_b32 s8, s8, s7
	s_min_i32 s1, s1, s9
	s_cmp_lg_u32 s8, 0
	s_cbranch_scc1 .LBB3_10
; %bb.11:
	v_mbcnt_lo_u32_b32 v2, exec_lo, 0
	s_mov_b32 s7, exec_lo
	s_delay_alu instid0(VALU_DEP_1)
	v_cmpx_eq_u32_e32 0, v2
	s_xor_b32 s7, exec_lo, s7
	s_cbranch_execz .LBB3_13
; %bb.12:
	v_dual_mov_b32 v2, 0 :: v_dual_mov_b32 v3, s1
	global_atomic_min_i32 v2, v3, s[2:3] scope:SCOPE_DEV
.LBB3_13:
	s_wait_xcnt 0x0
	s_or_b32 exec_lo, exec_lo, s7
                                        ; implicit-def: $vgpr2_vgpr3
.LBB3_14:
	s_or_saveexec_b32 s0, s0
	v_mov_b64_e32 v[4:5], 1.0
	s_xor_b32 exec_lo, exec_lo, s0
	s_cbranch_execz .LBB3_16
; %bb.15:
	v_div_scale_f64 v[4:5], null, v[2:3], v[2:3], 1.0
	s_delay_alu instid0(VALU_DEP_1) | instskip(SKIP_1) | instid1(TRANS32_DEP_1)
	v_rcp_f64_e32 v[6:7], v[4:5]
	v_nop
	v_fma_f64 v[8:9], -v[4:5], v[6:7], 1.0
	s_delay_alu instid0(VALU_DEP_1) | instskip(NEXT) | instid1(VALU_DEP_1)
	v_fmac_f64_e32 v[6:7], v[6:7], v[8:9]
	v_fma_f64 v[8:9], -v[4:5], v[6:7], 1.0
	s_delay_alu instid0(VALU_DEP_1) | instskip(SKIP_1) | instid1(VALU_DEP_1)
	v_fmac_f64_e32 v[6:7], v[6:7], v[8:9]
	v_div_scale_f64 v[8:9], vcc_lo, 1.0, v[2:3], 1.0
	v_mul_f64_e32 v[10:11], v[8:9], v[6:7]
	s_delay_alu instid0(VALU_DEP_1) | instskip(NEXT) | instid1(VALU_DEP_1)
	v_fma_f64 v[4:5], -v[4:5], v[10:11], v[8:9]
	v_div_fmas_f64 v[4:5], v[4:5], v[6:7], v[10:11]
	s_delay_alu instid0(VALU_DEP_1)
	v_div_fixup_f64 v[4:5], v[4:5], v[2:3], 1.0
.LBB3_16:
	s_or_b32 exec_lo, exec_lo, s0
.LBB3_17:
	s_delay_alu instid0(SALU_CYCLE_1)
	s_or_b32 exec_lo, exec_lo, s6
	s_wait_kmcnt 0x0
	v_lshl_add_u64 v[0:1], v[0:1], 3, s[4:5]
	global_store_b64 v[0:1], v[4:5], off
.LBB3_18:
	s_endpgm
	.section	.rodata,"a",@progbits
	.p2align	6, 0x0
	.amdhsa_kernel _ZN12_GLOBAL__N_129calculator_inverse_diagonal_tIdiiE23kernel_inverse_diagonalILj1024ELb0EEEviPKiPKd21rocsparse_index_base_PdS4_iS7_Pi
		.amdhsa_group_segment_fixed_size 0
		.amdhsa_private_segment_fixed_size 0
		.amdhsa_kernarg_size 64
		.amdhsa_user_sgpr_count 2
		.amdhsa_user_sgpr_dispatch_ptr 0
		.amdhsa_user_sgpr_queue_ptr 0
		.amdhsa_user_sgpr_kernarg_segment_ptr 1
		.amdhsa_user_sgpr_dispatch_id 0
		.amdhsa_user_sgpr_kernarg_preload_length 0
		.amdhsa_user_sgpr_kernarg_preload_offset 0
		.amdhsa_user_sgpr_private_segment_size 0
		.amdhsa_wavefront_size32 1
		.amdhsa_uses_dynamic_stack 0
		.amdhsa_enable_private_segment 0
		.amdhsa_system_sgpr_workgroup_id_x 1
		.amdhsa_system_sgpr_workgroup_id_y 0
		.amdhsa_system_sgpr_workgroup_id_z 0
		.amdhsa_system_sgpr_workgroup_info 0
		.amdhsa_system_vgpr_workitem_id 0
		.amdhsa_next_free_vgpr 12
		.amdhsa_next_free_sgpr 10
		.amdhsa_named_barrier_count 0
		.amdhsa_reserve_vcc 1
		.amdhsa_float_round_mode_32 0
		.amdhsa_float_round_mode_16_64 0
		.amdhsa_float_denorm_mode_32 3
		.amdhsa_float_denorm_mode_16_64 3
		.amdhsa_fp16_overflow 0
		.amdhsa_memory_ordered 1
		.amdhsa_forward_progress 1
		.amdhsa_inst_pref_size 6
		.amdhsa_round_robin_scheduling 0
		.amdhsa_exception_fp_ieee_invalid_op 0
		.amdhsa_exception_fp_denorm_src 0
		.amdhsa_exception_fp_ieee_div_zero 0
		.amdhsa_exception_fp_ieee_overflow 0
		.amdhsa_exception_fp_ieee_underflow 0
		.amdhsa_exception_fp_ieee_inexact 0
		.amdhsa_exception_int_div_zero 0
	.end_amdhsa_kernel
	.section	.text._ZN12_GLOBAL__N_129calculator_inverse_diagonal_tIdiiE23kernel_inverse_diagonalILj1024ELb0EEEviPKiPKd21rocsparse_index_base_PdS4_iS7_Pi,"axG",@progbits,_ZN12_GLOBAL__N_129calculator_inverse_diagonal_tIdiiE23kernel_inverse_diagonalILj1024ELb0EEEviPKiPKd21rocsparse_index_base_PdS4_iS7_Pi,comdat
.Lfunc_end3:
	.size	_ZN12_GLOBAL__N_129calculator_inverse_diagonal_tIdiiE23kernel_inverse_diagonalILj1024ELb0EEEviPKiPKd21rocsparse_index_base_PdS4_iS7_Pi, .Lfunc_end3-_ZN12_GLOBAL__N_129calculator_inverse_diagonal_tIdiiE23kernel_inverse_diagonalILj1024ELb0EEEviPKiPKd21rocsparse_index_base_PdS4_iS7_Pi
                                        ; -- End function
	.set _ZN12_GLOBAL__N_129calculator_inverse_diagonal_tIdiiE23kernel_inverse_diagonalILj1024ELb0EEEviPKiPKd21rocsparse_index_base_PdS4_iS7_Pi.num_vgpr, 12
	.set _ZN12_GLOBAL__N_129calculator_inverse_diagonal_tIdiiE23kernel_inverse_diagonalILj1024ELb0EEEviPKiPKd21rocsparse_index_base_PdS4_iS7_Pi.num_agpr, 0
	.set _ZN12_GLOBAL__N_129calculator_inverse_diagonal_tIdiiE23kernel_inverse_diagonalILj1024ELb0EEEviPKiPKd21rocsparse_index_base_PdS4_iS7_Pi.numbered_sgpr, 10
	.set _ZN12_GLOBAL__N_129calculator_inverse_diagonal_tIdiiE23kernel_inverse_diagonalILj1024ELb0EEEviPKiPKd21rocsparse_index_base_PdS4_iS7_Pi.num_named_barrier, 0
	.set _ZN12_GLOBAL__N_129calculator_inverse_diagonal_tIdiiE23kernel_inverse_diagonalILj1024ELb0EEEviPKiPKd21rocsparse_index_base_PdS4_iS7_Pi.private_seg_size, 0
	.set _ZN12_GLOBAL__N_129calculator_inverse_diagonal_tIdiiE23kernel_inverse_diagonalILj1024ELb0EEEviPKiPKd21rocsparse_index_base_PdS4_iS7_Pi.uses_vcc, 1
	.set _ZN12_GLOBAL__N_129calculator_inverse_diagonal_tIdiiE23kernel_inverse_diagonalILj1024ELb0EEEviPKiPKd21rocsparse_index_base_PdS4_iS7_Pi.uses_flat_scratch, 0
	.set _ZN12_GLOBAL__N_129calculator_inverse_diagonal_tIdiiE23kernel_inverse_diagonalILj1024ELb0EEEviPKiPKd21rocsparse_index_base_PdS4_iS7_Pi.has_dyn_sized_stack, 0
	.set _ZN12_GLOBAL__N_129calculator_inverse_diagonal_tIdiiE23kernel_inverse_diagonalILj1024ELb0EEEviPKiPKd21rocsparse_index_base_PdS4_iS7_Pi.has_recursion, 0
	.set _ZN12_GLOBAL__N_129calculator_inverse_diagonal_tIdiiE23kernel_inverse_diagonalILj1024ELb0EEEviPKiPKd21rocsparse_index_base_PdS4_iS7_Pi.has_indirect_call, 0
	.section	.AMDGPU.csdata,"",@progbits
; Kernel info:
; codeLenInByte = 656
; TotalNumSgprs: 12
; NumVgprs: 12
; ScratchSize: 0
; MemoryBound: 0
; FloatMode: 240
; IeeeMode: 1
; LDSByteSize: 0 bytes/workgroup (compile time only)
; SGPRBlocks: 0
; VGPRBlocks: 0
; NumSGPRsForWavesPerEU: 12
; NumVGPRsForWavesPerEU: 12
; NamedBarCnt: 0
; Occupancy: 16
; WaveLimiterHint : 1
; COMPUTE_PGM_RSRC2:SCRATCH_EN: 0
; COMPUTE_PGM_RSRC2:USER_SGPR: 2
; COMPUTE_PGM_RSRC2:TRAP_HANDLER: 0
; COMPUTE_PGM_RSRC2:TGID_X_EN: 1
; COMPUTE_PGM_RSRC2:TGID_Y_EN: 0
; COMPUTE_PGM_RSRC2:TGID_Z_EN: 0
; COMPUTE_PGM_RSRC2:TIDIG_COMP_CNT: 0
	.section	.text._ZN12_GLOBAL__N_129calculator_inverse_diagonal_tIdiiE23kernel_inverse_diagonalILj1024ELb1EEEviPKiPKd21rocsparse_index_base_PdS4_iS7_Pi,"axG",@progbits,_ZN12_GLOBAL__N_129calculator_inverse_diagonal_tIdiiE23kernel_inverse_diagonalILj1024ELb1EEEviPKiPKd21rocsparse_index_base_PdS4_iS7_Pi,comdat
	.globl	_ZN12_GLOBAL__N_129calculator_inverse_diagonal_tIdiiE23kernel_inverse_diagonalILj1024ELb1EEEviPKiPKd21rocsparse_index_base_PdS4_iS7_Pi ; -- Begin function _ZN12_GLOBAL__N_129calculator_inverse_diagonal_tIdiiE23kernel_inverse_diagonalILj1024ELb1EEEviPKiPKd21rocsparse_index_base_PdS4_iS7_Pi
	.p2align	8
	.type	_ZN12_GLOBAL__N_129calculator_inverse_diagonal_tIdiiE23kernel_inverse_diagonalILj1024ELb1EEEviPKiPKd21rocsparse_index_base_PdS4_iS7_Pi,@function
_ZN12_GLOBAL__N_129calculator_inverse_diagonal_tIdiiE23kernel_inverse_diagonalILj1024ELb1EEEviPKiPKd21rocsparse_index_base_PdS4_iS7_Pi: ; @_ZN12_GLOBAL__N_129calculator_inverse_diagonal_tIdiiE23kernel_inverse_diagonalILj1024ELb1EEEviPKiPKd21rocsparse_index_base_PdS4_iS7_Pi
; %bb.0:
	s_load_b32 s2, s[0:1], 0x0
	s_bfe_u32 s3, ttmp6, 0x4000c
	s_and_b32 s4, ttmp6, 15
	s_add_co_i32 s3, s3, 1
	s_getreg_b32 s5, hwreg(HW_REG_IB_STS2, 6, 4)
	s_mul_i32 s3, ttmp9, s3
	s_delay_alu instid0(SALU_CYCLE_1) | instskip(SKIP_2) | instid1(SALU_CYCLE_1)
	s_add_co_i32 s4, s4, s3
	s_cmp_eq_u32 s5, 0
	s_cselect_b32 s3, ttmp9, s4
	v_lshl_or_b32 v0, s3, 10, v0
	s_wait_kmcnt 0x0
	s_delay_alu instid0(VALU_DEP_1)
	v_cmp_gt_i32_e32 vcc_lo, s2, v0
	s_and_saveexec_b32 s2, vcc_lo
	s_cbranch_execz .LBB4_18
; %bb.1:
	s_clause 0x1
	s_load_b128 s[4:7], s[0:1], 0x28
	s_load_b64 s[2:3], s[0:1], 0x38
	s_wait_kmcnt 0x0
	global_load_b32 v1, v0, s[4:5] scale_offset
	s_wait_xcnt 0x0
	s_load_b64 s[4:5], s[0:1], 0x8
	s_sub_co_i32 s6, s6, s7
	s_load_b32 s7, s[0:1], 0x18
	s_wait_loadcnt 0x0
	v_add_nc_u32_e32 v2, s6, v1
	s_wait_kmcnt 0x0
	global_load_b32 v1, v2, s[4:5] scale_offset
	s_wait_xcnt 0x0
	s_mov_b32 s4, exec_lo
	s_wait_loadcnt 0x0
	v_subrev_nc_u32_e32 v3, s7, v1
	v_ashrrev_i32_e32 v1, 31, v0
	s_delay_alu instid0(VALU_DEP_2)
	v_cmpx_ne_u32_e64 v3, v0
	s_xor_b32 s4, exec_lo, s4
	s_cbranch_execz .LBB4_7
; %bb.2:
	v_add_nc_u32_e32 v2, s7, v0
	s_mov_b32 s6, exec_lo
	s_brev_b32 s5, -2
.LBB4_3:                                ; =>This Inner Loop Header: Depth=1
	s_ctz_i32_b32 s8, s6
	s_delay_alu instid0(VALU_DEP_1) | instid1(SALU_CYCLE_1)
	v_readlane_b32 s9, v2, s8
	s_lshl_b32 s8, 1, s8
	s_delay_alu instid0(SALU_CYCLE_1)
	s_and_not1_b32 s6, s6, s8
	s_min_i32 s5, s5, s9
	s_cmp_lg_u32 s6, 0
	s_cbranch_scc1 .LBB4_3
; %bb.4:
	v_mbcnt_lo_u32_b32 v2, exec_lo, 0
	s_mov_b32 s6, exec_lo
	s_delay_alu instid0(VALU_DEP_1)
	v_cmpx_eq_u32_e32 0, v2
	s_xor_b32 s6, exec_lo, s6
	s_cbranch_execz .LBB4_6
; %bb.5:
	v_dual_mov_b32 v2, 0 :: v_dual_mov_b32 v3, s5
	global_atomic_min_i32 v2, v3, s[2:3] scope:SCOPE_DEV
.LBB4_6:
	s_wait_xcnt 0x0
	s_or_b32 exec_lo, exec_lo, s6
                                        ; implicit-def: $vgpr2
.LBB4_7:
	s_or_saveexec_b32 s6, s4
	s_load_b64 s[4:5], s[0:1], 0x20
	v_mov_b64_e32 v[4:5], 1.0
	s_xor_b32 exec_lo, exec_lo, s6
	s_cbranch_execz .LBB4_17
; %bb.8:
	s_wait_xcnt 0x0
	s_load_b64 s[0:1], s[0:1], 0x10
	v_ashrrev_i32_e32 v3, 31, v2
	s_wait_kmcnt 0x0
	s_delay_alu instid0(VALU_DEP_1)
	v_lshl_add_u64 v[2:3], v[2:3], 3, s[0:1]
	s_mov_b32 s0, exec_lo
	global_load_b64 v[2:3], v[2:3], off
	s_wait_loadcnt 0x0
	v_cmpx_eq_f64_e32 0, v[2:3]
	s_xor_b32 s0, exec_lo, s0
	s_cbranch_execz .LBB4_14
; %bb.9:
	v_add_nc_u32_e32 v2, s7, v0
	s_mov_b32 s8, exec_lo
	s_brev_b32 s1, -2
.LBB4_10:                               ; =>This Inner Loop Header: Depth=1
	s_ctz_i32_b32 s7, s8
	s_delay_alu instid0(VALU_DEP_1) | instid1(SALU_CYCLE_1)
	v_readlane_b32 s9, v2, s7
	s_lshl_b32 s7, 1, s7
	s_delay_alu instid0(SALU_CYCLE_1)
	s_and_not1_b32 s8, s8, s7
	s_min_i32 s1, s1, s9
	s_cmp_lg_u32 s8, 0
	s_cbranch_scc1 .LBB4_10
; %bb.11:
	v_mbcnt_lo_u32_b32 v2, exec_lo, 0
	s_mov_b32 s7, exec_lo
	s_delay_alu instid0(VALU_DEP_1)
	v_cmpx_eq_u32_e32 0, v2
	s_xor_b32 s7, exec_lo, s7
	s_cbranch_execz .LBB4_13
; %bb.12:
	v_dual_mov_b32 v2, 0 :: v_dual_mov_b32 v3, s1
	global_atomic_min_i32 v2, v3, s[2:3] scope:SCOPE_DEV
.LBB4_13:
	s_wait_xcnt 0x0
	s_or_b32 exec_lo, exec_lo, s7
                                        ; implicit-def: $vgpr2_vgpr3
.LBB4_14:
	s_or_saveexec_b32 s0, s0
	v_mov_b64_e32 v[4:5], 1.0
	s_xor_b32 exec_lo, exec_lo, s0
	s_cbranch_execz .LBB4_16
; %bb.15:
	v_div_scale_f64 v[4:5], null, v[2:3], v[2:3], 1.0
	s_delay_alu instid0(VALU_DEP_1) | instskip(SKIP_1) | instid1(TRANS32_DEP_1)
	v_rcp_f64_e32 v[6:7], v[4:5]
	v_nop
	v_fma_f64 v[8:9], -v[4:5], v[6:7], 1.0
	s_delay_alu instid0(VALU_DEP_1) | instskip(NEXT) | instid1(VALU_DEP_1)
	v_fmac_f64_e32 v[6:7], v[6:7], v[8:9]
	v_fma_f64 v[8:9], -v[4:5], v[6:7], 1.0
	s_delay_alu instid0(VALU_DEP_1) | instskip(SKIP_1) | instid1(VALU_DEP_1)
	v_fmac_f64_e32 v[6:7], v[6:7], v[8:9]
	v_div_scale_f64 v[8:9], vcc_lo, 1.0, v[2:3], 1.0
	v_mul_f64_e32 v[10:11], v[8:9], v[6:7]
	s_delay_alu instid0(VALU_DEP_1) | instskip(NEXT) | instid1(VALU_DEP_1)
	v_fma_f64 v[4:5], -v[4:5], v[10:11], v[8:9]
	v_div_fmas_f64 v[4:5], v[4:5], v[6:7], v[10:11]
	s_delay_alu instid0(VALU_DEP_1)
	v_div_fixup_f64 v[4:5], v[4:5], v[2:3], 1.0
.LBB4_16:
	s_or_b32 exec_lo, exec_lo, s0
.LBB4_17:
	s_delay_alu instid0(SALU_CYCLE_1)
	s_or_b32 exec_lo, exec_lo, s6
	s_wait_kmcnt 0x0
	v_lshl_add_u64 v[0:1], v[0:1], 3, s[4:5]
	global_store_b64 v[0:1], v[4:5], off
.LBB4_18:
	s_endpgm
	.section	.rodata,"a",@progbits
	.p2align	6, 0x0
	.amdhsa_kernel _ZN12_GLOBAL__N_129calculator_inverse_diagonal_tIdiiE23kernel_inverse_diagonalILj1024ELb1EEEviPKiPKd21rocsparse_index_base_PdS4_iS7_Pi
		.amdhsa_group_segment_fixed_size 0
		.amdhsa_private_segment_fixed_size 0
		.amdhsa_kernarg_size 64
		.amdhsa_user_sgpr_count 2
		.amdhsa_user_sgpr_dispatch_ptr 0
		.amdhsa_user_sgpr_queue_ptr 0
		.amdhsa_user_sgpr_kernarg_segment_ptr 1
		.amdhsa_user_sgpr_dispatch_id 0
		.amdhsa_user_sgpr_kernarg_preload_length 0
		.amdhsa_user_sgpr_kernarg_preload_offset 0
		.amdhsa_user_sgpr_private_segment_size 0
		.amdhsa_wavefront_size32 1
		.amdhsa_uses_dynamic_stack 0
		.amdhsa_enable_private_segment 0
		.amdhsa_system_sgpr_workgroup_id_x 1
		.amdhsa_system_sgpr_workgroup_id_y 0
		.amdhsa_system_sgpr_workgroup_id_z 0
		.amdhsa_system_sgpr_workgroup_info 0
		.amdhsa_system_vgpr_workitem_id 0
		.amdhsa_next_free_vgpr 12
		.amdhsa_next_free_sgpr 10
		.amdhsa_named_barrier_count 0
		.amdhsa_reserve_vcc 1
		.amdhsa_float_round_mode_32 0
		.amdhsa_float_round_mode_16_64 0
		.amdhsa_float_denorm_mode_32 3
		.amdhsa_float_denorm_mode_16_64 3
		.amdhsa_fp16_overflow 0
		.amdhsa_memory_ordered 1
		.amdhsa_forward_progress 1
		.amdhsa_inst_pref_size 6
		.amdhsa_round_robin_scheduling 0
		.amdhsa_exception_fp_ieee_invalid_op 0
		.amdhsa_exception_fp_denorm_src 0
		.amdhsa_exception_fp_ieee_div_zero 0
		.amdhsa_exception_fp_ieee_overflow 0
		.amdhsa_exception_fp_ieee_underflow 0
		.amdhsa_exception_fp_ieee_inexact 0
		.amdhsa_exception_int_div_zero 0
	.end_amdhsa_kernel
	.section	.text._ZN12_GLOBAL__N_129calculator_inverse_diagonal_tIdiiE23kernel_inverse_diagonalILj1024ELb1EEEviPKiPKd21rocsparse_index_base_PdS4_iS7_Pi,"axG",@progbits,_ZN12_GLOBAL__N_129calculator_inverse_diagonal_tIdiiE23kernel_inverse_diagonalILj1024ELb1EEEviPKiPKd21rocsparse_index_base_PdS4_iS7_Pi,comdat
.Lfunc_end4:
	.size	_ZN12_GLOBAL__N_129calculator_inverse_diagonal_tIdiiE23kernel_inverse_diagonalILj1024ELb1EEEviPKiPKd21rocsparse_index_base_PdS4_iS7_Pi, .Lfunc_end4-_ZN12_GLOBAL__N_129calculator_inverse_diagonal_tIdiiE23kernel_inverse_diagonalILj1024ELb1EEEviPKiPKd21rocsparse_index_base_PdS4_iS7_Pi
                                        ; -- End function
	.set _ZN12_GLOBAL__N_129calculator_inverse_diagonal_tIdiiE23kernel_inverse_diagonalILj1024ELb1EEEviPKiPKd21rocsparse_index_base_PdS4_iS7_Pi.num_vgpr, 12
	.set _ZN12_GLOBAL__N_129calculator_inverse_diagonal_tIdiiE23kernel_inverse_diagonalILj1024ELb1EEEviPKiPKd21rocsparse_index_base_PdS4_iS7_Pi.num_agpr, 0
	.set _ZN12_GLOBAL__N_129calculator_inverse_diagonal_tIdiiE23kernel_inverse_diagonalILj1024ELb1EEEviPKiPKd21rocsparse_index_base_PdS4_iS7_Pi.numbered_sgpr, 10
	.set _ZN12_GLOBAL__N_129calculator_inverse_diagonal_tIdiiE23kernel_inverse_diagonalILj1024ELb1EEEviPKiPKd21rocsparse_index_base_PdS4_iS7_Pi.num_named_barrier, 0
	.set _ZN12_GLOBAL__N_129calculator_inverse_diagonal_tIdiiE23kernel_inverse_diagonalILj1024ELb1EEEviPKiPKd21rocsparse_index_base_PdS4_iS7_Pi.private_seg_size, 0
	.set _ZN12_GLOBAL__N_129calculator_inverse_diagonal_tIdiiE23kernel_inverse_diagonalILj1024ELb1EEEviPKiPKd21rocsparse_index_base_PdS4_iS7_Pi.uses_vcc, 1
	.set _ZN12_GLOBAL__N_129calculator_inverse_diagonal_tIdiiE23kernel_inverse_diagonalILj1024ELb1EEEviPKiPKd21rocsparse_index_base_PdS4_iS7_Pi.uses_flat_scratch, 0
	.set _ZN12_GLOBAL__N_129calculator_inverse_diagonal_tIdiiE23kernel_inverse_diagonalILj1024ELb1EEEviPKiPKd21rocsparse_index_base_PdS4_iS7_Pi.has_dyn_sized_stack, 0
	.set _ZN12_GLOBAL__N_129calculator_inverse_diagonal_tIdiiE23kernel_inverse_diagonalILj1024ELb1EEEviPKiPKd21rocsparse_index_base_PdS4_iS7_Pi.has_recursion, 0
	.set _ZN12_GLOBAL__N_129calculator_inverse_diagonal_tIdiiE23kernel_inverse_diagonalILj1024ELb1EEEviPKiPKd21rocsparse_index_base_PdS4_iS7_Pi.has_indirect_call, 0
	.section	.AMDGPU.csdata,"",@progbits
; Kernel info:
; codeLenInByte = 656
; TotalNumSgprs: 12
; NumVgprs: 12
; ScratchSize: 0
; MemoryBound: 0
; FloatMode: 240
; IeeeMode: 1
; LDSByteSize: 0 bytes/workgroup (compile time only)
; SGPRBlocks: 0
; VGPRBlocks: 0
; NumSGPRsForWavesPerEU: 12
; NumVGPRsForWavesPerEU: 12
; NamedBarCnt: 0
; Occupancy: 16
; WaveLimiterHint : 1
; COMPUTE_PGM_RSRC2:SCRATCH_EN: 0
; COMPUTE_PGM_RSRC2:USER_SGPR: 2
; COMPUTE_PGM_RSRC2:TRAP_HANDLER: 0
; COMPUTE_PGM_RSRC2:TGID_X_EN: 1
; COMPUTE_PGM_RSRC2:TGID_Y_EN: 0
; COMPUTE_PGM_RSRC2:TGID_Z_EN: 0
; COMPUTE_PGM_RSRC2:TIDIG_COMP_CNT: 0
	.section	.text._ZN9rocsparseL26kernel_add_scaled_residualILj1024EidEEvT0_PKT1_PS2_S4_,"axG",@progbits,_ZN9rocsparseL26kernel_add_scaled_residualILj1024EidEEvT0_PKT1_PS2_S4_,comdat
	.globl	_ZN9rocsparseL26kernel_add_scaled_residualILj1024EidEEvT0_PKT1_PS2_S4_ ; -- Begin function _ZN9rocsparseL26kernel_add_scaled_residualILj1024EidEEvT0_PKT1_PS2_S4_
	.p2align	8
	.type	_ZN9rocsparseL26kernel_add_scaled_residualILj1024EidEEvT0_PKT1_PS2_S4_,@function
_ZN9rocsparseL26kernel_add_scaled_residualILj1024EidEEvT0_PKT1_PS2_S4_: ; @_ZN9rocsparseL26kernel_add_scaled_residualILj1024EidEEvT0_PKT1_PS2_S4_
; %bb.0:
	s_load_b32 s2, s[0:1], 0x0
	s_bfe_u32 s3, ttmp6, 0x4000c
	s_and_b32 s4, ttmp6, 15
	s_add_co_i32 s3, s3, 1
	s_getreg_b32 s5, hwreg(HW_REG_IB_STS2, 6, 4)
	s_mul_i32 s3, ttmp9, s3
	s_delay_alu instid0(SALU_CYCLE_1) | instskip(SKIP_2) | instid1(SALU_CYCLE_1)
	s_add_co_i32 s4, s4, s3
	s_cmp_eq_u32 s5, 0
	s_cselect_b32 s3, ttmp9, s4
	v_lshl_or_b32 v0, s3, 10, v0
	s_wait_kmcnt 0x0
	s_delay_alu instid0(VALU_DEP_1)
	v_cmp_gt_u32_e32 vcc_lo, s2, v0
	s_and_saveexec_b32 s2, vcc_lo
	s_cbranch_execz .LBB5_2
; %bb.1:
	s_clause 0x1
	s_load_b128 s[4:7], s[0:1], 0x8
	s_load_b64 s[2:3], s[0:1], 0x18
	s_wait_kmcnt 0x0
	s_clause 0x2
	global_load_b64 v[2:3], v0, s[6:7] scale_offset
	global_load_b64 v[4:5], v0, s[4:5] scale_offset
	;; [unrolled: 1-line block ×3, first 2 shown]
	s_wait_loadcnt 0x0
	v_fmac_f64_e32 v[2:3], v[6:7], v[4:5]
	global_store_b64 v0, v[2:3], s[6:7] scale_offset
.LBB5_2:
	s_endpgm
	.section	.rodata,"a",@progbits
	.p2align	6, 0x0
	.amdhsa_kernel _ZN9rocsparseL26kernel_add_scaled_residualILj1024EidEEvT0_PKT1_PS2_S4_
		.amdhsa_group_segment_fixed_size 0
		.amdhsa_private_segment_fixed_size 0
		.amdhsa_kernarg_size 32
		.amdhsa_user_sgpr_count 2
		.amdhsa_user_sgpr_dispatch_ptr 0
		.amdhsa_user_sgpr_queue_ptr 0
		.amdhsa_user_sgpr_kernarg_segment_ptr 1
		.amdhsa_user_sgpr_dispatch_id 0
		.amdhsa_user_sgpr_kernarg_preload_length 0
		.amdhsa_user_sgpr_kernarg_preload_offset 0
		.amdhsa_user_sgpr_private_segment_size 0
		.amdhsa_wavefront_size32 1
		.amdhsa_uses_dynamic_stack 0
		.amdhsa_enable_private_segment 0
		.amdhsa_system_sgpr_workgroup_id_x 1
		.amdhsa_system_sgpr_workgroup_id_y 0
		.amdhsa_system_sgpr_workgroup_id_z 0
		.amdhsa_system_sgpr_workgroup_info 0
		.amdhsa_system_vgpr_workitem_id 0
		.amdhsa_next_free_vgpr 8
		.amdhsa_next_free_sgpr 8
		.amdhsa_named_barrier_count 0
		.amdhsa_reserve_vcc 1
		.amdhsa_float_round_mode_32 0
		.amdhsa_float_round_mode_16_64 0
		.amdhsa_float_denorm_mode_32 3
		.amdhsa_float_denorm_mode_16_64 3
		.amdhsa_fp16_overflow 0
		.amdhsa_memory_ordered 1
		.amdhsa_forward_progress 1
		.amdhsa_inst_pref_size 2
		.amdhsa_round_robin_scheduling 0
		.amdhsa_exception_fp_ieee_invalid_op 0
		.amdhsa_exception_fp_denorm_src 0
		.amdhsa_exception_fp_ieee_div_zero 0
		.amdhsa_exception_fp_ieee_overflow 0
		.amdhsa_exception_fp_ieee_underflow 0
		.amdhsa_exception_fp_ieee_inexact 0
		.amdhsa_exception_int_div_zero 0
	.end_amdhsa_kernel
	.section	.text._ZN9rocsparseL26kernel_add_scaled_residualILj1024EidEEvT0_PKT1_PS2_S4_,"axG",@progbits,_ZN9rocsparseL26kernel_add_scaled_residualILj1024EidEEvT0_PKT1_PS2_S4_,comdat
.Lfunc_end5:
	.size	_ZN9rocsparseL26kernel_add_scaled_residualILj1024EidEEvT0_PKT1_PS2_S4_, .Lfunc_end5-_ZN9rocsparseL26kernel_add_scaled_residualILj1024EidEEvT0_PKT1_PS2_S4_
                                        ; -- End function
	.set _ZN9rocsparseL26kernel_add_scaled_residualILj1024EidEEvT0_PKT1_PS2_S4_.num_vgpr, 8
	.set _ZN9rocsparseL26kernel_add_scaled_residualILj1024EidEEvT0_PKT1_PS2_S4_.num_agpr, 0
	.set _ZN9rocsparseL26kernel_add_scaled_residualILj1024EidEEvT0_PKT1_PS2_S4_.numbered_sgpr, 8
	.set _ZN9rocsparseL26kernel_add_scaled_residualILj1024EidEEvT0_PKT1_PS2_S4_.num_named_barrier, 0
	.set _ZN9rocsparseL26kernel_add_scaled_residualILj1024EidEEvT0_PKT1_PS2_S4_.private_seg_size, 0
	.set _ZN9rocsparseL26kernel_add_scaled_residualILj1024EidEEvT0_PKT1_PS2_S4_.uses_vcc, 1
	.set _ZN9rocsparseL26kernel_add_scaled_residualILj1024EidEEvT0_PKT1_PS2_S4_.uses_flat_scratch, 0
	.set _ZN9rocsparseL26kernel_add_scaled_residualILj1024EidEEvT0_PKT1_PS2_S4_.has_dyn_sized_stack, 0
	.set _ZN9rocsparseL26kernel_add_scaled_residualILj1024EidEEvT0_PKT1_PS2_S4_.has_recursion, 0
	.set _ZN9rocsparseL26kernel_add_scaled_residualILj1024EidEEvT0_PKT1_PS2_S4_.has_indirect_call, 0
	.section	.AMDGPU.csdata,"",@progbits
; Kernel info:
; codeLenInByte = 164
; TotalNumSgprs: 10
; NumVgprs: 8
; ScratchSize: 0
; MemoryBound: 1
; FloatMode: 240
; IeeeMode: 1
; LDSByteSize: 0 bytes/workgroup (compile time only)
; SGPRBlocks: 0
; VGPRBlocks: 0
; NumSGPRsForWavesPerEU: 10
; NumVGPRsForWavesPerEU: 8
; NamedBarCnt: 0
; Occupancy: 16
; WaveLimiterHint : 0
; COMPUTE_PGM_RSRC2:SCRATCH_EN: 0
; COMPUTE_PGM_RSRC2:USER_SGPR: 2
; COMPUTE_PGM_RSRC2:TRAP_HANDLER: 0
; COMPUTE_PGM_RSRC2:TGID_X_EN: 1
; COMPUTE_PGM_RSRC2:TGID_Y_EN: 0
; COMPUTE_PGM_RSRC2:TGID_Z_EN: 0
; COMPUTE_PGM_RSRC2:TIDIG_COMP_CNT: 0
	.section	.text._ZN12_GLOBAL__N_129calculator_inverse_diagonal_tI21rocsparse_complex_numIfEiiE23kernel_inverse_diagonalILj1024ELb0EEEviPKiPKS2_21rocsparse_index_base_PS2_S6_iS9_Pi,"axG",@progbits,_ZN12_GLOBAL__N_129calculator_inverse_diagonal_tI21rocsparse_complex_numIfEiiE23kernel_inverse_diagonalILj1024ELb0EEEviPKiPKS2_21rocsparse_index_base_PS2_S6_iS9_Pi,comdat
	.globl	_ZN12_GLOBAL__N_129calculator_inverse_diagonal_tI21rocsparse_complex_numIfEiiE23kernel_inverse_diagonalILj1024ELb0EEEviPKiPKS2_21rocsparse_index_base_PS2_S6_iS9_Pi ; -- Begin function _ZN12_GLOBAL__N_129calculator_inverse_diagonal_tI21rocsparse_complex_numIfEiiE23kernel_inverse_diagonalILj1024ELb0EEEviPKiPKS2_21rocsparse_index_base_PS2_S6_iS9_Pi
	.p2align	8
	.type	_ZN12_GLOBAL__N_129calculator_inverse_diagonal_tI21rocsparse_complex_numIfEiiE23kernel_inverse_diagonalILj1024ELb0EEEviPKiPKS2_21rocsparse_index_base_PS2_S6_iS9_Pi,@function
_ZN12_GLOBAL__N_129calculator_inverse_diagonal_tI21rocsparse_complex_numIfEiiE23kernel_inverse_diagonalILj1024ELb0EEEviPKiPKS2_21rocsparse_index_base_PS2_S6_iS9_Pi: ; @_ZN12_GLOBAL__N_129calculator_inverse_diagonal_tI21rocsparse_complex_numIfEiiE23kernel_inverse_diagonalILj1024ELb0EEEviPKiPKS2_21rocsparse_index_base_PS2_S6_iS9_Pi
; %bb.0:
	s_load_b32 s2, s[0:1], 0x0
	s_bfe_u32 s3, ttmp6, 0x4000c
	s_and_b32 s4, ttmp6, 15
	s_add_co_i32 s3, s3, 1
	s_getreg_b32 s5, hwreg(HW_REG_IB_STS2, 6, 4)
	s_mul_i32 s3, ttmp9, s3
	s_delay_alu instid0(SALU_CYCLE_1) | instskip(SKIP_2) | instid1(SALU_CYCLE_1)
	s_add_co_i32 s4, s4, s3
	s_cmp_eq_u32 s5, 0
	s_cselect_b32 s3, ttmp9, s4
	v_lshl_or_b32 v0, s3, 10, v0
	s_wait_kmcnt 0x0
	s_delay_alu instid0(VALU_DEP_1)
	v_cmp_gt_i32_e32 vcc_lo, s2, v0
	s_and_saveexec_b32 s2, vcc_lo
	s_cbranch_execz .LBB6_16
; %bb.1:
	s_load_b256 s[4:11], s[0:1], 0x20
	s_mov_b32 s3, exec_lo
	s_wait_kmcnt 0x0
	global_load_b32 v1, v0, s[6:7] scale_offset
	s_wait_xcnt 0x0
	s_load_b64 s[6:7], s[0:1], 0x8
	s_sub_co_i32 s2, s8, s9
	s_wait_loadcnt 0x0
	v_add_nc_u32_e32 v2, s2, v1
	s_load_b32 s2, s[0:1], 0x18
	s_wait_kmcnt 0x0
	global_load_b32 v1, v2, s[6:7] scale_offset
	s_wait_loadcnt 0x0
	v_subrev_nc_u32_e32 v3, s2, v1
	v_ashrrev_i32_e32 v1, 31, v0
	s_delay_alu instid0(VALU_DEP_2)
	v_cmpx_ne_u32_e64 v3, v0
	s_xor_b32 s3, exec_lo, s3
	s_cbranch_execz .LBB6_7
; %bb.2:
	v_add_nc_u32_e32 v2, s2, v0
	s_mov_b32 s7, exec_lo
	s_brev_b32 s6, -2
.LBB6_3:                                ; =>This Inner Loop Header: Depth=1
	s_ctz_i32_b32 s8, s7
	s_delay_alu instid0(VALU_DEP_1) | instid1(SALU_CYCLE_1)
	v_readlane_b32 s9, v2, s8
	s_lshl_b32 s8, 1, s8
	s_delay_alu instid0(SALU_CYCLE_1)
	s_and_not1_b32 s7, s7, s8
	s_min_i32 s6, s6, s9
	s_cmp_lg_u32 s7, 0
	s_cbranch_scc1 .LBB6_3
; %bb.4:
	v_mbcnt_lo_u32_b32 v2, exec_lo, 0
	s_mov_b32 s7, exec_lo
	s_delay_alu instid0(VALU_DEP_1)
	v_cmpx_eq_u32_e32 0, v2
	s_xor_b32 s7, exec_lo, s7
	s_cbranch_execz .LBB6_6
; %bb.5:
	v_dual_mov_b32 v2, 0 :: v_dual_mov_b32 v3, s6
	global_atomic_min_i32 v2, v3, s[10:11] scope:SCOPE_DEV
.LBB6_6:
	s_wait_xcnt 0x0
	s_or_b32 exec_lo, exec_lo, s7
	v_mov_b64_e32 v[2:3], 0x3f800000
	v_lshl_add_u64 v[0:1], v[0:1], 3, s[4:5]
	global_store_b64 v[0:1], v[2:3], off
                                        ; implicit-def: $vgpr0_vgpr1
                                        ; implicit-def: $vgpr2
.LBB6_7:
	s_wait_xcnt 0x0
	s_and_not1_saveexec_b32 s3, s3
	s_cbranch_execz .LBB6_16
; %bb.8:
	s_load_b64 s[0:1], s[0:1], 0x10
	v_ashrrev_i32_e32 v3, 31, v2
	s_wait_kmcnt 0x0
	s_delay_alu instid0(VALU_DEP_1)
	v_lshl_add_u64 v[2:3], v[2:3], 3, s[0:1]
	global_load_b64 v[2:3], v[2:3], off
	s_wait_loadcnt 0x0
	v_cmp_eq_f32_e32 vcc_lo, 0, v2
	v_cmp_eq_f32_e64 s0, 0, v3
	s_and_b32 s0, vcc_lo, s0
	s_wait_xcnt 0x0
	s_and_saveexec_b32 s1, s0
	s_delay_alu instid0(SALU_CYCLE_1)
	s_xor_b32 s0, exec_lo, s1
	s_cbranch_execz .LBB6_14
; %bb.9:
	v_add_nc_u32_e32 v2, s2, v0
	s_mov_b32 s3, exec_lo
	s_brev_b32 s1, -2
.LBB6_10:                               ; =>This Inner Loop Header: Depth=1
	s_ctz_i32_b32 s2, s3
	s_delay_alu instid0(VALU_DEP_1) | instid1(SALU_CYCLE_1)
	v_readlane_b32 s6, v2, s2
	s_lshl_b32 s2, 1, s2
	s_delay_alu instid0(SALU_CYCLE_1)
	s_and_not1_b32 s3, s3, s2
	s_min_i32 s1, s1, s6
	s_cmp_lg_u32 s3, 0
	s_cbranch_scc1 .LBB6_10
; %bb.11:
	v_mbcnt_lo_u32_b32 v2, exec_lo, 0
	s_mov_b32 s2, exec_lo
	s_delay_alu instid0(VALU_DEP_1)
	v_cmpx_eq_u32_e32 0, v2
	s_xor_b32 s2, exec_lo, s2
	s_cbranch_execz .LBB6_13
; %bb.12:
	v_dual_mov_b32 v2, 0 :: v_dual_mov_b32 v3, s1
	global_atomic_min_i32 v2, v3, s[10:11] scope:SCOPE_DEV
.LBB6_13:
	s_wait_xcnt 0x0
	s_or_b32 exec_lo, exec_lo, s2
	v_mov_b64_e32 v[2:3], 0x3f800000
	v_lshl_add_u64 v[0:1], v[0:1], 3, s[4:5]
	global_store_b64 v[0:1], v[2:3], off
                                        ; implicit-def: $vgpr2_vgpr3
                                        ; implicit-def: $vgpr0_vgpr1
.LBB6_14:
	s_wait_xcnt 0x0
	s_and_not1_saveexec_b32 s0, s0
	s_cbranch_execz .LBB6_16
; %bb.15:
	v_mul_f32_e32 v5, v3, v3
	v_lshl_add_u64 v[0:1], v[0:1], 3, s[4:5]
	s_delay_alu instid0(VALU_DEP_2) | instskip(NEXT) | instid1(VALU_DEP_1)
	v_fmac_f32_e32 v5, v2, v2
	v_div_scale_f32 v4, null, v5, v5, 1.0
	v_div_scale_f32 v8, vcc_lo, 1.0, v5, 1.0
	s_delay_alu instid0(VALU_DEP_2) | instskip(SKIP_1) | instid1(TRANS32_DEP_1)
	v_rcp_f32_e32 v6, v4
	v_nop
	v_fma_f32 v7, -v4, v6, 1.0
	s_delay_alu instid0(VALU_DEP_1) | instskip(NEXT) | instid1(VALU_DEP_1)
	v_fmac_f32_e32 v6, v7, v6
	v_mul_f32_e32 v7, v8, v6
	s_delay_alu instid0(VALU_DEP_1) | instskip(NEXT) | instid1(VALU_DEP_1)
	v_fma_f32 v9, -v4, v7, v8
	v_fmac_f32_e32 v7, v9, v6
	s_delay_alu instid0(VALU_DEP_1) | instskip(NEXT) | instid1(VALU_DEP_1)
	v_fma_f32 v4, -v4, v7, v8
	v_div_fmas_f32 v6, v4, v6, v7
	v_fma_f32 v4, 0, v3, v2
	s_delay_alu instid0(VALU_DEP_2) | instskip(SKIP_1) | instid1(VALU_DEP_1)
	v_div_fixup_f32 v6, v6, v5, 1.0
	v_fma_f32 v5, v2, 0, -v3
	v_pk_mul_f32 v[2:3], v[4:5], v[6:7] op_sel_hi:[1,0]
	global_store_b64 v[0:1], v[2:3], off
.LBB6_16:
	s_endpgm
	.section	.rodata,"a",@progbits
	.p2align	6, 0x0
	.amdhsa_kernel _ZN12_GLOBAL__N_129calculator_inverse_diagonal_tI21rocsparse_complex_numIfEiiE23kernel_inverse_diagonalILj1024ELb0EEEviPKiPKS2_21rocsparse_index_base_PS2_S6_iS9_Pi
		.amdhsa_group_segment_fixed_size 0
		.amdhsa_private_segment_fixed_size 0
		.amdhsa_kernarg_size 64
		.amdhsa_user_sgpr_count 2
		.amdhsa_user_sgpr_dispatch_ptr 0
		.amdhsa_user_sgpr_queue_ptr 0
		.amdhsa_user_sgpr_kernarg_segment_ptr 1
		.amdhsa_user_sgpr_dispatch_id 0
		.amdhsa_user_sgpr_kernarg_preload_length 0
		.amdhsa_user_sgpr_kernarg_preload_offset 0
		.amdhsa_user_sgpr_private_segment_size 0
		.amdhsa_wavefront_size32 1
		.amdhsa_uses_dynamic_stack 0
		.amdhsa_enable_private_segment 0
		.amdhsa_system_sgpr_workgroup_id_x 1
		.amdhsa_system_sgpr_workgroup_id_y 0
		.amdhsa_system_sgpr_workgroup_id_z 0
		.amdhsa_system_sgpr_workgroup_info 0
		.amdhsa_system_vgpr_workitem_id 0
		.amdhsa_next_free_vgpr 10
		.amdhsa_next_free_sgpr 12
		.amdhsa_named_barrier_count 0
		.amdhsa_reserve_vcc 1
		.amdhsa_float_round_mode_32 0
		.amdhsa_float_round_mode_16_64 0
		.amdhsa_float_denorm_mode_32 3
		.amdhsa_float_denorm_mode_16_64 3
		.amdhsa_fp16_overflow 0
		.amdhsa_memory_ordered 1
		.amdhsa_forward_progress 1
		.amdhsa_inst_pref_size 6
		.amdhsa_round_robin_scheduling 0
		.amdhsa_exception_fp_ieee_invalid_op 0
		.amdhsa_exception_fp_denorm_src 0
		.amdhsa_exception_fp_ieee_div_zero 0
		.amdhsa_exception_fp_ieee_overflow 0
		.amdhsa_exception_fp_ieee_underflow 0
		.amdhsa_exception_fp_ieee_inexact 0
		.amdhsa_exception_int_div_zero 0
	.end_amdhsa_kernel
	.section	.text._ZN12_GLOBAL__N_129calculator_inverse_diagonal_tI21rocsparse_complex_numIfEiiE23kernel_inverse_diagonalILj1024ELb0EEEviPKiPKS2_21rocsparse_index_base_PS2_S6_iS9_Pi,"axG",@progbits,_ZN12_GLOBAL__N_129calculator_inverse_diagonal_tI21rocsparse_complex_numIfEiiE23kernel_inverse_diagonalILj1024ELb0EEEviPKiPKS2_21rocsparse_index_base_PS2_S6_iS9_Pi,comdat
.Lfunc_end6:
	.size	_ZN12_GLOBAL__N_129calculator_inverse_diagonal_tI21rocsparse_complex_numIfEiiE23kernel_inverse_diagonalILj1024ELb0EEEviPKiPKS2_21rocsparse_index_base_PS2_S6_iS9_Pi, .Lfunc_end6-_ZN12_GLOBAL__N_129calculator_inverse_diagonal_tI21rocsparse_complex_numIfEiiE23kernel_inverse_diagonalILj1024ELb0EEEviPKiPKS2_21rocsparse_index_base_PS2_S6_iS9_Pi
                                        ; -- End function
	.set _ZN12_GLOBAL__N_129calculator_inverse_diagonal_tI21rocsparse_complex_numIfEiiE23kernel_inverse_diagonalILj1024ELb0EEEviPKiPKS2_21rocsparse_index_base_PS2_S6_iS9_Pi.num_vgpr, 10
	.set _ZN12_GLOBAL__N_129calculator_inverse_diagonal_tI21rocsparse_complex_numIfEiiE23kernel_inverse_diagonalILj1024ELb0EEEviPKiPKS2_21rocsparse_index_base_PS2_S6_iS9_Pi.num_agpr, 0
	.set _ZN12_GLOBAL__N_129calculator_inverse_diagonal_tI21rocsparse_complex_numIfEiiE23kernel_inverse_diagonalILj1024ELb0EEEviPKiPKS2_21rocsparse_index_base_PS2_S6_iS9_Pi.numbered_sgpr, 12
	.set _ZN12_GLOBAL__N_129calculator_inverse_diagonal_tI21rocsparse_complex_numIfEiiE23kernel_inverse_diagonalILj1024ELb0EEEviPKiPKS2_21rocsparse_index_base_PS2_S6_iS9_Pi.num_named_barrier, 0
	.set _ZN12_GLOBAL__N_129calculator_inverse_diagonal_tI21rocsparse_complex_numIfEiiE23kernel_inverse_diagonalILj1024ELb0EEEviPKiPKS2_21rocsparse_index_base_PS2_S6_iS9_Pi.private_seg_size, 0
	.set _ZN12_GLOBAL__N_129calculator_inverse_diagonal_tI21rocsparse_complex_numIfEiiE23kernel_inverse_diagonalILj1024ELb0EEEviPKiPKS2_21rocsparse_index_base_PS2_S6_iS9_Pi.uses_vcc, 1
	.set _ZN12_GLOBAL__N_129calculator_inverse_diagonal_tI21rocsparse_complex_numIfEiiE23kernel_inverse_diagonalILj1024ELb0EEEviPKiPKS2_21rocsparse_index_base_PS2_S6_iS9_Pi.uses_flat_scratch, 0
	.set _ZN12_GLOBAL__N_129calculator_inverse_diagonal_tI21rocsparse_complex_numIfEiiE23kernel_inverse_diagonalILj1024ELb0EEEviPKiPKS2_21rocsparse_index_base_PS2_S6_iS9_Pi.has_dyn_sized_stack, 0
	.set _ZN12_GLOBAL__N_129calculator_inverse_diagonal_tI21rocsparse_complex_numIfEiiE23kernel_inverse_diagonalILj1024ELb0EEEviPKiPKS2_21rocsparse_index_base_PS2_S6_iS9_Pi.has_recursion, 0
	.set _ZN12_GLOBAL__N_129calculator_inverse_diagonal_tI21rocsparse_complex_numIfEiiE23kernel_inverse_diagonalILj1024ELb0EEEviPKiPKS2_21rocsparse_index_base_PS2_S6_iS9_Pi.has_indirect_call, 0
	.section	.AMDGPU.csdata,"",@progbits
; Kernel info:
; codeLenInByte = 716
; TotalNumSgprs: 14
; NumVgprs: 10
; ScratchSize: 0
; MemoryBound: 0
; FloatMode: 240
; IeeeMode: 1
; LDSByteSize: 0 bytes/workgroup (compile time only)
; SGPRBlocks: 0
; VGPRBlocks: 0
; NumSGPRsForWavesPerEU: 14
; NumVGPRsForWavesPerEU: 10
; NamedBarCnt: 0
; Occupancy: 16
; WaveLimiterHint : 1
; COMPUTE_PGM_RSRC2:SCRATCH_EN: 0
; COMPUTE_PGM_RSRC2:USER_SGPR: 2
; COMPUTE_PGM_RSRC2:TRAP_HANDLER: 0
; COMPUTE_PGM_RSRC2:TGID_X_EN: 1
; COMPUTE_PGM_RSRC2:TGID_Y_EN: 0
; COMPUTE_PGM_RSRC2:TGID_Z_EN: 0
; COMPUTE_PGM_RSRC2:TIDIG_COMP_CNT: 0
	.section	.text._ZN12_GLOBAL__N_129calculator_inverse_diagonal_tI21rocsparse_complex_numIfEiiE23kernel_inverse_diagonalILj1024ELb1EEEviPKiPKS2_21rocsparse_index_base_PS2_S6_iS9_Pi,"axG",@progbits,_ZN12_GLOBAL__N_129calculator_inverse_diagonal_tI21rocsparse_complex_numIfEiiE23kernel_inverse_diagonalILj1024ELb1EEEviPKiPKS2_21rocsparse_index_base_PS2_S6_iS9_Pi,comdat
	.globl	_ZN12_GLOBAL__N_129calculator_inverse_diagonal_tI21rocsparse_complex_numIfEiiE23kernel_inverse_diagonalILj1024ELb1EEEviPKiPKS2_21rocsparse_index_base_PS2_S6_iS9_Pi ; -- Begin function _ZN12_GLOBAL__N_129calculator_inverse_diagonal_tI21rocsparse_complex_numIfEiiE23kernel_inverse_diagonalILj1024ELb1EEEviPKiPKS2_21rocsparse_index_base_PS2_S6_iS9_Pi
	.p2align	8
	.type	_ZN12_GLOBAL__N_129calculator_inverse_diagonal_tI21rocsparse_complex_numIfEiiE23kernel_inverse_diagonalILj1024ELb1EEEviPKiPKS2_21rocsparse_index_base_PS2_S6_iS9_Pi,@function
_ZN12_GLOBAL__N_129calculator_inverse_diagonal_tI21rocsparse_complex_numIfEiiE23kernel_inverse_diagonalILj1024ELb1EEEviPKiPKS2_21rocsparse_index_base_PS2_S6_iS9_Pi: ; @_ZN12_GLOBAL__N_129calculator_inverse_diagonal_tI21rocsparse_complex_numIfEiiE23kernel_inverse_diagonalILj1024ELb1EEEviPKiPKS2_21rocsparse_index_base_PS2_S6_iS9_Pi
; %bb.0:
	s_load_b32 s2, s[0:1], 0x0
	s_bfe_u32 s3, ttmp6, 0x4000c
	s_and_b32 s4, ttmp6, 15
	s_add_co_i32 s3, s3, 1
	s_getreg_b32 s5, hwreg(HW_REG_IB_STS2, 6, 4)
	s_mul_i32 s3, ttmp9, s3
	s_delay_alu instid0(SALU_CYCLE_1) | instskip(SKIP_2) | instid1(SALU_CYCLE_1)
	s_add_co_i32 s4, s4, s3
	s_cmp_eq_u32 s5, 0
	s_cselect_b32 s3, ttmp9, s4
	v_lshl_or_b32 v0, s3, 10, v0
	s_wait_kmcnt 0x0
	s_delay_alu instid0(VALU_DEP_1)
	v_cmp_gt_i32_e32 vcc_lo, s2, v0
	s_and_saveexec_b32 s2, vcc_lo
	s_cbranch_execz .LBB7_16
; %bb.1:
	s_load_b256 s[4:11], s[0:1], 0x20
	s_mov_b32 s3, exec_lo
	s_wait_kmcnt 0x0
	global_load_b32 v1, v0, s[6:7] scale_offset
	s_wait_xcnt 0x0
	s_load_b64 s[6:7], s[0:1], 0x8
	s_sub_co_i32 s2, s8, s9
	s_wait_loadcnt 0x0
	v_add_nc_u32_e32 v2, s2, v1
	s_load_b32 s2, s[0:1], 0x18
	s_wait_kmcnt 0x0
	global_load_b32 v1, v2, s[6:7] scale_offset
	s_wait_loadcnt 0x0
	v_subrev_nc_u32_e32 v3, s2, v1
	v_ashrrev_i32_e32 v1, 31, v0
	s_delay_alu instid0(VALU_DEP_2)
	v_cmpx_ne_u32_e64 v3, v0
	s_xor_b32 s3, exec_lo, s3
	s_cbranch_execz .LBB7_7
; %bb.2:
	v_add_nc_u32_e32 v2, s2, v0
	s_mov_b32 s7, exec_lo
	s_brev_b32 s6, -2
.LBB7_3:                                ; =>This Inner Loop Header: Depth=1
	s_ctz_i32_b32 s8, s7
	s_delay_alu instid0(VALU_DEP_1) | instid1(SALU_CYCLE_1)
	v_readlane_b32 s9, v2, s8
	s_lshl_b32 s8, 1, s8
	s_delay_alu instid0(SALU_CYCLE_1)
	s_and_not1_b32 s7, s7, s8
	s_min_i32 s6, s6, s9
	s_cmp_lg_u32 s7, 0
	s_cbranch_scc1 .LBB7_3
; %bb.4:
	v_mbcnt_lo_u32_b32 v2, exec_lo, 0
	s_mov_b32 s7, exec_lo
	s_delay_alu instid0(VALU_DEP_1)
	v_cmpx_eq_u32_e32 0, v2
	s_xor_b32 s7, exec_lo, s7
	s_cbranch_execz .LBB7_6
; %bb.5:
	v_dual_mov_b32 v2, 0 :: v_dual_mov_b32 v3, s6
	global_atomic_min_i32 v2, v3, s[10:11] scope:SCOPE_DEV
.LBB7_6:
	s_wait_xcnt 0x0
	s_or_b32 exec_lo, exec_lo, s7
	v_mov_b64_e32 v[2:3], 0x3f800000
	v_lshl_add_u64 v[0:1], v[0:1], 3, s[4:5]
	global_store_b64 v[0:1], v[2:3], off
                                        ; implicit-def: $vgpr0_vgpr1
                                        ; implicit-def: $vgpr2
.LBB7_7:
	s_wait_xcnt 0x0
	s_and_not1_saveexec_b32 s3, s3
	s_cbranch_execz .LBB7_16
; %bb.8:
	s_load_b64 s[0:1], s[0:1], 0x10
	v_ashrrev_i32_e32 v3, 31, v2
	s_wait_kmcnt 0x0
	s_delay_alu instid0(VALU_DEP_1)
	v_lshl_add_u64 v[2:3], v[2:3], 3, s[0:1]
	global_load_b64 v[2:3], v[2:3], off
	s_wait_loadcnt 0x0
	v_cmp_eq_f32_e32 vcc_lo, 0, v2
	v_cmp_eq_f32_e64 s0, 0, v3
	s_and_b32 s0, vcc_lo, s0
	s_wait_xcnt 0x0
	s_and_saveexec_b32 s1, s0
	s_delay_alu instid0(SALU_CYCLE_1)
	s_xor_b32 s0, exec_lo, s1
	s_cbranch_execz .LBB7_14
; %bb.9:
	v_add_nc_u32_e32 v2, s2, v0
	s_mov_b32 s3, exec_lo
	s_brev_b32 s1, -2
.LBB7_10:                               ; =>This Inner Loop Header: Depth=1
	s_ctz_i32_b32 s2, s3
	s_delay_alu instid0(VALU_DEP_1) | instid1(SALU_CYCLE_1)
	v_readlane_b32 s6, v2, s2
	s_lshl_b32 s2, 1, s2
	s_delay_alu instid0(SALU_CYCLE_1)
	s_and_not1_b32 s3, s3, s2
	s_min_i32 s1, s1, s6
	s_cmp_lg_u32 s3, 0
	s_cbranch_scc1 .LBB7_10
; %bb.11:
	v_mbcnt_lo_u32_b32 v2, exec_lo, 0
	s_mov_b32 s2, exec_lo
	s_delay_alu instid0(VALU_DEP_1)
	v_cmpx_eq_u32_e32 0, v2
	s_xor_b32 s2, exec_lo, s2
	s_cbranch_execz .LBB7_13
; %bb.12:
	v_dual_mov_b32 v2, 0 :: v_dual_mov_b32 v3, s1
	global_atomic_min_i32 v2, v3, s[10:11] scope:SCOPE_DEV
.LBB7_13:
	s_wait_xcnt 0x0
	s_or_b32 exec_lo, exec_lo, s2
	v_mov_b64_e32 v[2:3], 0x3f800000
	v_lshl_add_u64 v[0:1], v[0:1], 3, s[4:5]
	global_store_b64 v[0:1], v[2:3], off
                                        ; implicit-def: $vgpr2_vgpr3
                                        ; implicit-def: $vgpr0_vgpr1
.LBB7_14:
	s_wait_xcnt 0x0
	s_and_not1_saveexec_b32 s0, s0
	s_cbranch_execz .LBB7_16
; %bb.15:
	v_mul_f32_e32 v5, v3, v3
	v_lshl_add_u64 v[0:1], v[0:1], 3, s[4:5]
	s_delay_alu instid0(VALU_DEP_2) | instskip(NEXT) | instid1(VALU_DEP_1)
	v_fmac_f32_e32 v5, v2, v2
	v_div_scale_f32 v4, null, v5, v5, 1.0
	v_div_scale_f32 v8, vcc_lo, 1.0, v5, 1.0
	s_delay_alu instid0(VALU_DEP_2) | instskip(SKIP_1) | instid1(TRANS32_DEP_1)
	v_rcp_f32_e32 v6, v4
	v_nop
	v_fma_f32 v7, -v4, v6, 1.0
	s_delay_alu instid0(VALU_DEP_1) | instskip(NEXT) | instid1(VALU_DEP_1)
	v_fmac_f32_e32 v6, v7, v6
	v_mul_f32_e32 v7, v8, v6
	s_delay_alu instid0(VALU_DEP_1) | instskip(NEXT) | instid1(VALU_DEP_1)
	v_fma_f32 v9, -v4, v7, v8
	v_fmac_f32_e32 v7, v9, v6
	s_delay_alu instid0(VALU_DEP_1) | instskip(SKIP_1) | instid1(VALU_DEP_2)
	v_fma_f32 v8, -v4, v7, v8
	v_dual_fmamk_f32 v4, v3, 0x80000000, v2 :: v_dual_fmac_f32 v3, 0, v2
	v_div_fmas_f32 v6, v8, v6, v7
	s_delay_alu instid0(VALU_DEP_1) | instskip(NEXT) | instid1(VALU_DEP_3)
	v_div_fixup_f32 v2, v6, v5, 1.0
	v_mov_b32_e32 v5, v3
	s_delay_alu instid0(VALU_DEP_1)
	v_pk_mul_f32 v[2:3], v[4:5], v[2:3] op_sel_hi:[1,0]
	global_store_b64 v[0:1], v[2:3], off
.LBB7_16:
	s_endpgm
	.section	.rodata,"a",@progbits
	.p2align	6, 0x0
	.amdhsa_kernel _ZN12_GLOBAL__N_129calculator_inverse_diagonal_tI21rocsparse_complex_numIfEiiE23kernel_inverse_diagonalILj1024ELb1EEEviPKiPKS2_21rocsparse_index_base_PS2_S6_iS9_Pi
		.amdhsa_group_segment_fixed_size 0
		.amdhsa_private_segment_fixed_size 0
		.amdhsa_kernarg_size 64
		.amdhsa_user_sgpr_count 2
		.amdhsa_user_sgpr_dispatch_ptr 0
		.amdhsa_user_sgpr_queue_ptr 0
		.amdhsa_user_sgpr_kernarg_segment_ptr 1
		.amdhsa_user_sgpr_dispatch_id 0
		.amdhsa_user_sgpr_kernarg_preload_length 0
		.amdhsa_user_sgpr_kernarg_preload_offset 0
		.amdhsa_user_sgpr_private_segment_size 0
		.amdhsa_wavefront_size32 1
		.amdhsa_uses_dynamic_stack 0
		.amdhsa_enable_private_segment 0
		.amdhsa_system_sgpr_workgroup_id_x 1
		.amdhsa_system_sgpr_workgroup_id_y 0
		.amdhsa_system_sgpr_workgroup_id_z 0
		.amdhsa_system_sgpr_workgroup_info 0
		.amdhsa_system_vgpr_workitem_id 0
		.amdhsa_next_free_vgpr 10
		.amdhsa_next_free_sgpr 12
		.amdhsa_named_barrier_count 0
		.amdhsa_reserve_vcc 1
		.amdhsa_float_round_mode_32 0
		.amdhsa_float_round_mode_16_64 0
		.amdhsa_float_denorm_mode_32 3
		.amdhsa_float_denorm_mode_16_64 3
		.amdhsa_fp16_overflow 0
		.amdhsa_memory_ordered 1
		.amdhsa_forward_progress 1
		.amdhsa_inst_pref_size 6
		.amdhsa_round_robin_scheduling 0
		.amdhsa_exception_fp_ieee_invalid_op 0
		.amdhsa_exception_fp_denorm_src 0
		.amdhsa_exception_fp_ieee_div_zero 0
		.amdhsa_exception_fp_ieee_overflow 0
		.amdhsa_exception_fp_ieee_underflow 0
		.amdhsa_exception_fp_ieee_inexact 0
		.amdhsa_exception_int_div_zero 0
	.end_amdhsa_kernel
	.section	.text._ZN12_GLOBAL__N_129calculator_inverse_diagonal_tI21rocsparse_complex_numIfEiiE23kernel_inverse_diagonalILj1024ELb1EEEviPKiPKS2_21rocsparse_index_base_PS2_S6_iS9_Pi,"axG",@progbits,_ZN12_GLOBAL__N_129calculator_inverse_diagonal_tI21rocsparse_complex_numIfEiiE23kernel_inverse_diagonalILj1024ELb1EEEviPKiPKS2_21rocsparse_index_base_PS2_S6_iS9_Pi,comdat
.Lfunc_end7:
	.size	_ZN12_GLOBAL__N_129calculator_inverse_diagonal_tI21rocsparse_complex_numIfEiiE23kernel_inverse_diagonalILj1024ELb1EEEviPKiPKS2_21rocsparse_index_base_PS2_S6_iS9_Pi, .Lfunc_end7-_ZN12_GLOBAL__N_129calculator_inverse_diagonal_tI21rocsparse_complex_numIfEiiE23kernel_inverse_diagonalILj1024ELb1EEEviPKiPKS2_21rocsparse_index_base_PS2_S6_iS9_Pi
                                        ; -- End function
	.set _ZN12_GLOBAL__N_129calculator_inverse_diagonal_tI21rocsparse_complex_numIfEiiE23kernel_inverse_diagonalILj1024ELb1EEEviPKiPKS2_21rocsparse_index_base_PS2_S6_iS9_Pi.num_vgpr, 10
	.set _ZN12_GLOBAL__N_129calculator_inverse_diagonal_tI21rocsparse_complex_numIfEiiE23kernel_inverse_diagonalILj1024ELb1EEEviPKiPKS2_21rocsparse_index_base_PS2_S6_iS9_Pi.num_agpr, 0
	.set _ZN12_GLOBAL__N_129calculator_inverse_diagonal_tI21rocsparse_complex_numIfEiiE23kernel_inverse_diagonalILj1024ELb1EEEviPKiPKS2_21rocsparse_index_base_PS2_S6_iS9_Pi.numbered_sgpr, 12
	.set _ZN12_GLOBAL__N_129calculator_inverse_diagonal_tI21rocsparse_complex_numIfEiiE23kernel_inverse_diagonalILj1024ELb1EEEviPKiPKS2_21rocsparse_index_base_PS2_S6_iS9_Pi.num_named_barrier, 0
	.set _ZN12_GLOBAL__N_129calculator_inverse_diagonal_tI21rocsparse_complex_numIfEiiE23kernel_inverse_diagonalILj1024ELb1EEEviPKiPKS2_21rocsparse_index_base_PS2_S6_iS9_Pi.private_seg_size, 0
	.set _ZN12_GLOBAL__N_129calculator_inverse_diagonal_tI21rocsparse_complex_numIfEiiE23kernel_inverse_diagonalILj1024ELb1EEEviPKiPKS2_21rocsparse_index_base_PS2_S6_iS9_Pi.uses_vcc, 1
	.set _ZN12_GLOBAL__N_129calculator_inverse_diagonal_tI21rocsparse_complex_numIfEiiE23kernel_inverse_diagonalILj1024ELb1EEEviPKiPKS2_21rocsparse_index_base_PS2_S6_iS9_Pi.uses_flat_scratch, 0
	.set _ZN12_GLOBAL__N_129calculator_inverse_diagonal_tI21rocsparse_complex_numIfEiiE23kernel_inverse_diagonalILj1024ELb1EEEviPKiPKS2_21rocsparse_index_base_PS2_S6_iS9_Pi.has_dyn_sized_stack, 0
	.set _ZN12_GLOBAL__N_129calculator_inverse_diagonal_tI21rocsparse_complex_numIfEiiE23kernel_inverse_diagonalILj1024ELb1EEEviPKiPKS2_21rocsparse_index_base_PS2_S6_iS9_Pi.has_recursion, 0
	.set _ZN12_GLOBAL__N_129calculator_inverse_diagonal_tI21rocsparse_complex_numIfEiiE23kernel_inverse_diagonalILj1024ELb1EEEviPKiPKS2_21rocsparse_index_base_PS2_S6_iS9_Pi.has_indirect_call, 0
	.section	.AMDGPU.csdata,"",@progbits
; Kernel info:
; codeLenInByte = 720
; TotalNumSgprs: 14
; NumVgprs: 10
; ScratchSize: 0
; MemoryBound: 0
; FloatMode: 240
; IeeeMode: 1
; LDSByteSize: 0 bytes/workgroup (compile time only)
; SGPRBlocks: 0
; VGPRBlocks: 0
; NumSGPRsForWavesPerEU: 14
; NumVGPRsForWavesPerEU: 10
; NamedBarCnt: 0
; Occupancy: 16
; WaveLimiterHint : 1
; COMPUTE_PGM_RSRC2:SCRATCH_EN: 0
; COMPUTE_PGM_RSRC2:USER_SGPR: 2
; COMPUTE_PGM_RSRC2:TRAP_HANDLER: 0
; COMPUTE_PGM_RSRC2:TGID_X_EN: 1
; COMPUTE_PGM_RSRC2:TGID_Y_EN: 0
; COMPUTE_PGM_RSRC2:TGID_Z_EN: 0
; COMPUTE_PGM_RSRC2:TIDIG_COMP_CNT: 0
	.section	.text._ZN9rocsparseL26kernel_add_scaled_residualILj1024Ei21rocsparse_complex_numIfEEEvT0_PKT1_PS4_S6_,"axG",@progbits,_ZN9rocsparseL26kernel_add_scaled_residualILj1024Ei21rocsparse_complex_numIfEEEvT0_PKT1_PS4_S6_,comdat
	.globl	_ZN9rocsparseL26kernel_add_scaled_residualILj1024Ei21rocsparse_complex_numIfEEEvT0_PKT1_PS4_S6_ ; -- Begin function _ZN9rocsparseL26kernel_add_scaled_residualILj1024Ei21rocsparse_complex_numIfEEEvT0_PKT1_PS4_S6_
	.p2align	8
	.type	_ZN9rocsparseL26kernel_add_scaled_residualILj1024Ei21rocsparse_complex_numIfEEEvT0_PKT1_PS4_S6_,@function
_ZN9rocsparseL26kernel_add_scaled_residualILj1024Ei21rocsparse_complex_numIfEEEvT0_PKT1_PS4_S6_: ; @_ZN9rocsparseL26kernel_add_scaled_residualILj1024Ei21rocsparse_complex_numIfEEEvT0_PKT1_PS4_S6_
; %bb.0:
	s_load_b32 s2, s[0:1], 0x0
	s_bfe_u32 s3, ttmp6, 0x4000c
	s_and_b32 s4, ttmp6, 15
	s_add_co_i32 s3, s3, 1
	s_getreg_b32 s5, hwreg(HW_REG_IB_STS2, 6, 4)
	s_mul_i32 s3, ttmp9, s3
	s_delay_alu instid0(SALU_CYCLE_1) | instskip(SKIP_2) | instid1(SALU_CYCLE_1)
	s_add_co_i32 s4, s4, s3
	s_cmp_eq_u32 s5, 0
	s_cselect_b32 s3, ttmp9, s4
	v_lshl_or_b32 v0, s3, 10, v0
	s_wait_kmcnt 0x0
	s_delay_alu instid0(VALU_DEP_1)
	v_cmp_gt_u32_e32 vcc_lo, s2, v0
	s_and_saveexec_b32 s2, vcc_lo
	s_cbranch_execz .LBB8_2
; %bb.1:
	s_clause 0x1
	s_load_b64 s[2:3], s[0:1], 0x18
	s_load_b128 s[4:7], s[0:1], 0x8
	s_wait_kmcnt 0x0
	s_clause 0x2
	global_load_b64 v[2:3], v0, s[2:3] scale_offset
	global_load_b64 v[4:5], v0, s[4:5] scale_offset
	global_load_b64 v[6:7], v0, s[6:7] scale_offset
	s_wait_loadcnt 0x1
	v_pk_mul_f32 v[8:9], v[4:5], v[2:3] op_sel:[1,1] op_sel_hi:[1,0] neg_lo:[0,1]
	s_delay_alu instid0(VALU_DEP_1) | instskip(SKIP_1) | instid1(VALU_DEP_1)
	v_pk_fma_f32 v[2:3], v[2:3], v[4:5], v[8:9] op_sel_hi:[1,0,1]
	s_wait_loadcnt 0x0
	v_pk_add_f32 v[2:3], v[2:3], v[6:7]
	global_store_b64 v0, v[2:3], s[6:7] scale_offset
.LBB8_2:
	s_endpgm
	.section	.rodata,"a",@progbits
	.p2align	6, 0x0
	.amdhsa_kernel _ZN9rocsparseL26kernel_add_scaled_residualILj1024Ei21rocsparse_complex_numIfEEEvT0_PKT1_PS4_S6_
		.amdhsa_group_segment_fixed_size 0
		.amdhsa_private_segment_fixed_size 0
		.amdhsa_kernarg_size 32
		.amdhsa_user_sgpr_count 2
		.amdhsa_user_sgpr_dispatch_ptr 0
		.amdhsa_user_sgpr_queue_ptr 0
		.amdhsa_user_sgpr_kernarg_segment_ptr 1
		.amdhsa_user_sgpr_dispatch_id 0
		.amdhsa_user_sgpr_kernarg_preload_length 0
		.amdhsa_user_sgpr_kernarg_preload_offset 0
		.amdhsa_user_sgpr_private_segment_size 0
		.amdhsa_wavefront_size32 1
		.amdhsa_uses_dynamic_stack 0
		.amdhsa_enable_private_segment 0
		.amdhsa_system_sgpr_workgroup_id_x 1
		.amdhsa_system_sgpr_workgroup_id_y 0
		.amdhsa_system_sgpr_workgroup_id_z 0
		.amdhsa_system_sgpr_workgroup_info 0
		.amdhsa_system_vgpr_workitem_id 0
		.amdhsa_next_free_vgpr 10
		.amdhsa_next_free_sgpr 8
		.amdhsa_named_barrier_count 0
		.amdhsa_reserve_vcc 1
		.amdhsa_float_round_mode_32 0
		.amdhsa_float_round_mode_16_64 0
		.amdhsa_float_denorm_mode_32 3
		.amdhsa_float_denorm_mode_16_64 3
		.amdhsa_fp16_overflow 0
		.amdhsa_memory_ordered 1
		.amdhsa_forward_progress 1
		.amdhsa_inst_pref_size 2
		.amdhsa_round_robin_scheduling 0
		.amdhsa_exception_fp_ieee_invalid_op 0
		.amdhsa_exception_fp_denorm_src 0
		.amdhsa_exception_fp_ieee_div_zero 0
		.amdhsa_exception_fp_ieee_overflow 0
		.amdhsa_exception_fp_ieee_underflow 0
		.amdhsa_exception_fp_ieee_inexact 0
		.amdhsa_exception_int_div_zero 0
	.end_amdhsa_kernel
	.section	.text._ZN9rocsparseL26kernel_add_scaled_residualILj1024Ei21rocsparse_complex_numIfEEEvT0_PKT1_PS4_S6_,"axG",@progbits,_ZN9rocsparseL26kernel_add_scaled_residualILj1024Ei21rocsparse_complex_numIfEEEvT0_PKT1_PS4_S6_,comdat
.Lfunc_end8:
	.size	_ZN9rocsparseL26kernel_add_scaled_residualILj1024Ei21rocsparse_complex_numIfEEEvT0_PKT1_PS4_S6_, .Lfunc_end8-_ZN9rocsparseL26kernel_add_scaled_residualILj1024Ei21rocsparse_complex_numIfEEEvT0_PKT1_PS4_S6_
                                        ; -- End function
	.set _ZN9rocsparseL26kernel_add_scaled_residualILj1024Ei21rocsparse_complex_numIfEEEvT0_PKT1_PS4_S6_.num_vgpr, 10
	.set _ZN9rocsparseL26kernel_add_scaled_residualILj1024Ei21rocsparse_complex_numIfEEEvT0_PKT1_PS4_S6_.num_agpr, 0
	.set _ZN9rocsparseL26kernel_add_scaled_residualILj1024Ei21rocsparse_complex_numIfEEEvT0_PKT1_PS4_S6_.numbered_sgpr, 8
	.set _ZN9rocsparseL26kernel_add_scaled_residualILj1024Ei21rocsparse_complex_numIfEEEvT0_PKT1_PS4_S6_.num_named_barrier, 0
	.set _ZN9rocsparseL26kernel_add_scaled_residualILj1024Ei21rocsparse_complex_numIfEEEvT0_PKT1_PS4_S6_.private_seg_size, 0
	.set _ZN9rocsparseL26kernel_add_scaled_residualILj1024Ei21rocsparse_complex_numIfEEEvT0_PKT1_PS4_S6_.uses_vcc, 1
	.set _ZN9rocsparseL26kernel_add_scaled_residualILj1024Ei21rocsparse_complex_numIfEEEvT0_PKT1_PS4_S6_.uses_flat_scratch, 0
	.set _ZN9rocsparseL26kernel_add_scaled_residualILj1024Ei21rocsparse_complex_numIfEEEvT0_PKT1_PS4_S6_.has_dyn_sized_stack, 0
	.set _ZN9rocsparseL26kernel_add_scaled_residualILj1024Ei21rocsparse_complex_numIfEEEvT0_PKT1_PS4_S6_.has_recursion, 0
	.set _ZN9rocsparseL26kernel_add_scaled_residualILj1024Ei21rocsparse_complex_numIfEEEvT0_PKT1_PS4_S6_.has_indirect_call, 0
	.section	.AMDGPU.csdata,"",@progbits
; Kernel info:
; codeLenInByte = 192
; TotalNumSgprs: 10
; NumVgprs: 10
; ScratchSize: 0
; MemoryBound: 0
; FloatMode: 240
; IeeeMode: 1
; LDSByteSize: 0 bytes/workgroup (compile time only)
; SGPRBlocks: 0
; VGPRBlocks: 0
; NumSGPRsForWavesPerEU: 10
; NumVGPRsForWavesPerEU: 10
; NamedBarCnt: 0
; Occupancy: 16
; WaveLimiterHint : 0
; COMPUTE_PGM_RSRC2:SCRATCH_EN: 0
; COMPUTE_PGM_RSRC2:USER_SGPR: 2
; COMPUTE_PGM_RSRC2:TRAP_HANDLER: 0
; COMPUTE_PGM_RSRC2:TGID_X_EN: 1
; COMPUTE_PGM_RSRC2:TGID_Y_EN: 0
; COMPUTE_PGM_RSRC2:TGID_Z_EN: 0
; COMPUTE_PGM_RSRC2:TIDIG_COMP_CNT: 0
	.section	.text._ZN12_GLOBAL__N_129calculator_inverse_diagonal_tI21rocsparse_complex_numIdEiiE23kernel_inverse_diagonalILj1024ELb0EEEviPKiPKS2_21rocsparse_index_base_PS2_S6_iS9_Pi,"axG",@progbits,_ZN12_GLOBAL__N_129calculator_inverse_diagonal_tI21rocsparse_complex_numIdEiiE23kernel_inverse_diagonalILj1024ELb0EEEviPKiPKS2_21rocsparse_index_base_PS2_S6_iS9_Pi,comdat
	.globl	_ZN12_GLOBAL__N_129calculator_inverse_diagonal_tI21rocsparse_complex_numIdEiiE23kernel_inverse_diagonalILj1024ELb0EEEviPKiPKS2_21rocsparse_index_base_PS2_S6_iS9_Pi ; -- Begin function _ZN12_GLOBAL__N_129calculator_inverse_diagonal_tI21rocsparse_complex_numIdEiiE23kernel_inverse_diagonalILj1024ELb0EEEviPKiPKS2_21rocsparse_index_base_PS2_S6_iS9_Pi
	.p2align	8
	.type	_ZN12_GLOBAL__N_129calculator_inverse_diagonal_tI21rocsparse_complex_numIdEiiE23kernel_inverse_diagonalILj1024ELb0EEEviPKiPKS2_21rocsparse_index_base_PS2_S6_iS9_Pi,@function
_ZN12_GLOBAL__N_129calculator_inverse_diagonal_tI21rocsparse_complex_numIdEiiE23kernel_inverse_diagonalILj1024ELb0EEEviPKiPKS2_21rocsparse_index_base_PS2_S6_iS9_Pi: ; @_ZN12_GLOBAL__N_129calculator_inverse_diagonal_tI21rocsparse_complex_numIdEiiE23kernel_inverse_diagonalILj1024ELb0EEEviPKiPKS2_21rocsparse_index_base_PS2_S6_iS9_Pi
; %bb.0:
	s_load_b32 s2, s[0:1], 0x0
	s_bfe_u32 s3, ttmp6, 0x4000c
	s_and_b32 s4, ttmp6, 15
	s_add_co_i32 s3, s3, 1
	s_getreg_b32 s5, hwreg(HW_REG_IB_STS2, 6, 4)
	s_mul_i32 s3, ttmp9, s3
	s_delay_alu instid0(SALU_CYCLE_1) | instskip(SKIP_2) | instid1(SALU_CYCLE_1)
	s_add_co_i32 s4, s4, s3
	s_cmp_eq_u32 s5, 0
	s_cselect_b32 s3, ttmp9, s4
	v_lshl_or_b32 v8, s3, 10, v0
	s_wait_kmcnt 0x0
	s_delay_alu instid0(VALU_DEP_1)
	v_cmp_gt_i32_e32 vcc_lo, s2, v8
	s_and_saveexec_b32 s2, vcc_lo
	s_cbranch_execz .LBB9_18
; %bb.1:
	s_clause 0x1
	s_load_b128 s[4:7], s[0:1], 0x28
	s_load_b64 s[2:3], s[0:1], 0x38
	v_ashrrev_i32_e32 v9, 31, v8
	s_wait_kmcnt 0x0
	global_load_b32 v0, v8, s[4:5] scale_offset
	s_wait_xcnt 0x0
	s_load_b64 s[4:5], s[0:1], 0x8
	s_sub_co_i32 s6, s6, s7
	s_load_b32 s7, s[0:1], 0x18
	s_wait_loadcnt 0x0
	v_add_nc_u32_e32 v0, s6, v0
	s_wait_kmcnt 0x0
	global_load_b32 v1, v0, s[4:5] scale_offset
	s_wait_xcnt 0x0
	s_mov_b32 s4, exec_lo
	s_wait_loadcnt 0x0
	v_subrev_nc_u32_e32 v1, s7, v1
	s_delay_alu instid0(VALU_DEP_1)
	v_cmpx_ne_u32_e64 v1, v8
	s_xor_b32 s4, exec_lo, s4
	s_cbranch_execz .LBB9_7
; %bb.2:
	v_add_nc_u32_e32 v0, s7, v8
	s_mov_b32 s6, exec_lo
	s_brev_b32 s5, -2
.LBB9_3:                                ; =>This Inner Loop Header: Depth=1
	s_ctz_i32_b32 s8, s6
	s_delay_alu instid0(VALU_DEP_1) | instid1(SALU_CYCLE_1)
	v_readlane_b32 s9, v0, s8
	s_lshl_b32 s8, 1, s8
	s_delay_alu instid0(SALU_CYCLE_1)
	s_and_not1_b32 s6, s6, s8
	s_min_i32 s5, s5, s9
	s_cmp_lg_u32 s6, 0
	s_cbranch_scc1 .LBB9_3
; %bb.4:
	v_mbcnt_lo_u32_b32 v0, exec_lo, 0
	s_mov_b32 s6, exec_lo
	s_delay_alu instid0(VALU_DEP_1)
	v_cmpx_eq_u32_e32 0, v0
	s_xor_b32 s6, exec_lo, s6
	s_cbranch_execz .LBB9_6
; %bb.5:
	v_dual_mov_b32 v0, 0 :: v_dual_mov_b32 v1, s5
	global_atomic_min_i32 v0, v1, s[2:3] scope:SCOPE_DEV
.LBB9_6:
	s_wait_xcnt 0x0
	s_or_b32 exec_lo, exec_lo, s6
                                        ; implicit-def: $vgpr0
.LBB9_7:
	s_or_saveexec_b32 s6, s4
	s_load_b64 s[4:5], s[0:1], 0x20
	v_mov_b64_e32 v[6:7], 0
	v_mov_b64_e32 v[4:5], 1.0
	s_xor_b32 exec_lo, exec_lo, s6
	s_cbranch_execz .LBB9_17
; %bb.8:
	s_wait_xcnt 0x0
	s_load_b64 s[0:1], s[0:1], 0x10
	v_ashrrev_i32_e32 v1, 31, v0
	s_wait_kmcnt 0x0
	s_delay_alu instid0(VALU_DEP_1)
	v_lshl_add_u64 v[0:1], v[0:1], 4, s[0:1]
	global_load_b128 v[0:3], v[0:1], off
	s_wait_loadcnt 0x0
	v_cmp_eq_f64_e32 vcc_lo, 0, v[0:1]
	v_cmp_eq_f64_e64 s0, 0, v[2:3]
	s_and_b32 s0, vcc_lo, s0
	s_wait_xcnt 0x0
	s_and_saveexec_b32 s1, s0
	s_delay_alu instid0(SALU_CYCLE_1)
	s_xor_b32 s0, exec_lo, s1
	s_cbranch_execz .LBB9_14
; %bb.9:
	v_add_nc_u32_e32 v0, s7, v8
	s_mov_b32 s8, exec_lo
	s_brev_b32 s1, -2
.LBB9_10:                               ; =>This Inner Loop Header: Depth=1
	s_ctz_i32_b32 s7, s8
	s_delay_alu instid0(VALU_DEP_1) | instid1(SALU_CYCLE_1)
	v_readlane_b32 s9, v0, s7
	s_lshl_b32 s7, 1, s7
	s_delay_alu instid0(SALU_CYCLE_1)
	s_and_not1_b32 s8, s8, s7
	s_min_i32 s1, s1, s9
	s_cmp_lg_u32 s8, 0
	s_cbranch_scc1 .LBB9_10
; %bb.11:
	v_mbcnt_lo_u32_b32 v0, exec_lo, 0
	s_mov_b32 s7, exec_lo
	s_delay_alu instid0(VALU_DEP_1)
	v_cmpx_eq_u32_e32 0, v0
	s_xor_b32 s7, exec_lo, s7
	s_cbranch_execz .LBB9_13
; %bb.12:
	v_dual_mov_b32 v0, 0 :: v_dual_mov_b32 v1, s1
	global_atomic_min_i32 v0, v1, s[2:3] scope:SCOPE_DEV
.LBB9_13:
	s_wait_xcnt 0x0
	s_or_b32 exec_lo, exec_lo, s7
                                        ; implicit-def: $vgpr2_vgpr3
.LBB9_14:
	s_or_saveexec_b32 s0, s0
	v_mov_b64_e32 v[4:5], 1.0
	v_mov_b64_e32 v[6:7], 0
	s_xor_b32 exec_lo, exec_lo, s0
	s_cbranch_execz .LBB9_16
; %bb.15:
	v_mul_f64_e32 v[4:5], v[2:3], v[2:3]
	s_delay_alu instid0(VALU_DEP_1) | instskip(NEXT) | instid1(VALU_DEP_1)
	v_fmac_f64_e32 v[4:5], v[0:1], v[0:1]
	v_div_scale_f64 v[6:7], null, v[4:5], v[4:5], 1.0
	v_div_scale_f64 v[14:15], vcc_lo, 1.0, v[4:5], 1.0
	s_delay_alu instid0(VALU_DEP_2) | instskip(SKIP_1) | instid1(TRANS32_DEP_1)
	v_rcp_f64_e32 v[10:11], v[6:7]
	v_nop
	v_fma_f64 v[12:13], -v[6:7], v[10:11], 1.0
	s_delay_alu instid0(VALU_DEP_1) | instskip(NEXT) | instid1(VALU_DEP_1)
	v_fmac_f64_e32 v[10:11], v[10:11], v[12:13]
	v_fma_f64 v[12:13], -v[6:7], v[10:11], 1.0
	s_delay_alu instid0(VALU_DEP_1) | instskip(NEXT) | instid1(VALU_DEP_1)
	v_fmac_f64_e32 v[10:11], v[10:11], v[12:13]
	v_mul_f64_e32 v[12:13], v[14:15], v[10:11]
	s_delay_alu instid0(VALU_DEP_1) | instskip(NEXT) | instid1(VALU_DEP_1)
	v_fma_f64 v[6:7], -v[6:7], v[12:13], v[14:15]
	v_div_fmas_f64 v[6:7], v[6:7], v[10:11], v[12:13]
	v_fma_f64 v[10:11], 0, v[2:3], v[0:1]
	v_fma_f64 v[0:1], v[0:1], 0, -v[2:3]
	s_delay_alu instid0(VALU_DEP_3) | instskip(NEXT) | instid1(VALU_DEP_1)
	v_div_fixup_f64 v[6:7], v[6:7], v[4:5], 1.0
	v_mul_f64_e32 v[4:5], v[10:11], v[6:7]
	s_delay_alu instid0(VALU_DEP_3)
	v_mul_f64_e32 v[6:7], v[0:1], v[6:7]
.LBB9_16:
	s_or_b32 exec_lo, exec_lo, s0
.LBB9_17:
	s_delay_alu instid0(SALU_CYCLE_1)
	s_or_b32 exec_lo, exec_lo, s6
	s_wait_kmcnt 0x0
	v_lshl_add_u64 v[0:1], v[8:9], 4, s[4:5]
	global_store_b128 v[0:1], v[4:7], off
.LBB9_18:
	s_endpgm
	.section	.rodata,"a",@progbits
	.p2align	6, 0x0
	.amdhsa_kernel _ZN12_GLOBAL__N_129calculator_inverse_diagonal_tI21rocsparse_complex_numIdEiiE23kernel_inverse_diagonalILj1024ELb0EEEviPKiPKS2_21rocsparse_index_base_PS2_S6_iS9_Pi
		.amdhsa_group_segment_fixed_size 0
		.amdhsa_private_segment_fixed_size 0
		.amdhsa_kernarg_size 64
		.amdhsa_user_sgpr_count 2
		.amdhsa_user_sgpr_dispatch_ptr 0
		.amdhsa_user_sgpr_queue_ptr 0
		.amdhsa_user_sgpr_kernarg_segment_ptr 1
		.amdhsa_user_sgpr_dispatch_id 0
		.amdhsa_user_sgpr_kernarg_preload_length 0
		.amdhsa_user_sgpr_kernarg_preload_offset 0
		.amdhsa_user_sgpr_private_segment_size 0
		.amdhsa_wavefront_size32 1
		.amdhsa_uses_dynamic_stack 0
		.amdhsa_enable_private_segment 0
		.amdhsa_system_sgpr_workgroup_id_x 1
		.amdhsa_system_sgpr_workgroup_id_y 0
		.amdhsa_system_sgpr_workgroup_id_z 0
		.amdhsa_system_sgpr_workgroup_info 0
		.amdhsa_system_vgpr_workitem_id 0
		.amdhsa_next_free_vgpr 16
		.amdhsa_next_free_sgpr 10
		.amdhsa_named_barrier_count 0
		.amdhsa_reserve_vcc 1
		.amdhsa_float_round_mode_32 0
		.amdhsa_float_round_mode_16_64 0
		.amdhsa_float_denorm_mode_32 3
		.amdhsa_float_denorm_mode_16_64 3
		.amdhsa_fp16_overflow 0
		.amdhsa_memory_ordered 1
		.amdhsa_forward_progress 1
		.amdhsa_inst_pref_size 6
		.amdhsa_round_robin_scheduling 0
		.amdhsa_exception_fp_ieee_invalid_op 0
		.amdhsa_exception_fp_denorm_src 0
		.amdhsa_exception_fp_ieee_div_zero 0
		.amdhsa_exception_fp_ieee_overflow 0
		.amdhsa_exception_fp_ieee_underflow 0
		.amdhsa_exception_fp_ieee_inexact 0
		.amdhsa_exception_int_div_zero 0
	.end_amdhsa_kernel
	.section	.text._ZN12_GLOBAL__N_129calculator_inverse_diagonal_tI21rocsparse_complex_numIdEiiE23kernel_inverse_diagonalILj1024ELb0EEEviPKiPKS2_21rocsparse_index_base_PS2_S6_iS9_Pi,"axG",@progbits,_ZN12_GLOBAL__N_129calculator_inverse_diagonal_tI21rocsparse_complex_numIdEiiE23kernel_inverse_diagonalILj1024ELb0EEEviPKiPKS2_21rocsparse_index_base_PS2_S6_iS9_Pi,comdat
.Lfunc_end9:
	.size	_ZN12_GLOBAL__N_129calculator_inverse_diagonal_tI21rocsparse_complex_numIdEiiE23kernel_inverse_diagonalILj1024ELb0EEEviPKiPKS2_21rocsparse_index_base_PS2_S6_iS9_Pi, .Lfunc_end9-_ZN12_GLOBAL__N_129calculator_inverse_diagonal_tI21rocsparse_complex_numIdEiiE23kernel_inverse_diagonalILj1024ELb0EEEviPKiPKS2_21rocsparse_index_base_PS2_S6_iS9_Pi
                                        ; -- End function
	.set _ZN12_GLOBAL__N_129calculator_inverse_diagonal_tI21rocsparse_complex_numIdEiiE23kernel_inverse_diagonalILj1024ELb0EEEviPKiPKS2_21rocsparse_index_base_PS2_S6_iS9_Pi.num_vgpr, 16
	.set _ZN12_GLOBAL__N_129calculator_inverse_diagonal_tI21rocsparse_complex_numIdEiiE23kernel_inverse_diagonalILj1024ELb0EEEviPKiPKS2_21rocsparse_index_base_PS2_S6_iS9_Pi.num_agpr, 0
	.set _ZN12_GLOBAL__N_129calculator_inverse_diagonal_tI21rocsparse_complex_numIdEiiE23kernel_inverse_diagonalILj1024ELb0EEEviPKiPKS2_21rocsparse_index_base_PS2_S6_iS9_Pi.numbered_sgpr, 10
	.set _ZN12_GLOBAL__N_129calculator_inverse_diagonal_tI21rocsparse_complex_numIdEiiE23kernel_inverse_diagonalILj1024ELb0EEEviPKiPKS2_21rocsparse_index_base_PS2_S6_iS9_Pi.num_named_barrier, 0
	.set _ZN12_GLOBAL__N_129calculator_inverse_diagonal_tI21rocsparse_complex_numIdEiiE23kernel_inverse_diagonalILj1024ELb0EEEviPKiPKS2_21rocsparse_index_base_PS2_S6_iS9_Pi.private_seg_size, 0
	.set _ZN12_GLOBAL__N_129calculator_inverse_diagonal_tI21rocsparse_complex_numIdEiiE23kernel_inverse_diagonalILj1024ELb0EEEviPKiPKS2_21rocsparse_index_base_PS2_S6_iS9_Pi.uses_vcc, 1
	.set _ZN12_GLOBAL__N_129calculator_inverse_diagonal_tI21rocsparse_complex_numIdEiiE23kernel_inverse_diagonalILj1024ELb0EEEviPKiPKS2_21rocsparse_index_base_PS2_S6_iS9_Pi.uses_flat_scratch, 0
	.set _ZN12_GLOBAL__N_129calculator_inverse_diagonal_tI21rocsparse_complex_numIdEiiE23kernel_inverse_diagonalILj1024ELb0EEEviPKiPKS2_21rocsparse_index_base_PS2_S6_iS9_Pi.has_dyn_sized_stack, 0
	.set _ZN12_GLOBAL__N_129calculator_inverse_diagonal_tI21rocsparse_complex_numIdEiiE23kernel_inverse_diagonalILj1024ELb0EEEviPKiPKS2_21rocsparse_index_base_PS2_S6_iS9_Pi.has_recursion, 0
	.set _ZN12_GLOBAL__N_129calculator_inverse_diagonal_tI21rocsparse_complex_numIdEiiE23kernel_inverse_diagonalILj1024ELb0EEEviPKiPKS2_21rocsparse_index_base_PS2_S6_iS9_Pi.has_indirect_call, 0
	.section	.AMDGPU.csdata,"",@progbits
; Kernel info:
; codeLenInByte = 724
; TotalNumSgprs: 12
; NumVgprs: 16
; ScratchSize: 0
; MemoryBound: 0
; FloatMode: 240
; IeeeMode: 1
; LDSByteSize: 0 bytes/workgroup (compile time only)
; SGPRBlocks: 0
; VGPRBlocks: 0
; NumSGPRsForWavesPerEU: 12
; NumVGPRsForWavesPerEU: 16
; NamedBarCnt: 0
; Occupancy: 16
; WaveLimiterHint : 1
; COMPUTE_PGM_RSRC2:SCRATCH_EN: 0
; COMPUTE_PGM_RSRC2:USER_SGPR: 2
; COMPUTE_PGM_RSRC2:TRAP_HANDLER: 0
; COMPUTE_PGM_RSRC2:TGID_X_EN: 1
; COMPUTE_PGM_RSRC2:TGID_Y_EN: 0
; COMPUTE_PGM_RSRC2:TGID_Z_EN: 0
; COMPUTE_PGM_RSRC2:TIDIG_COMP_CNT: 0
	.section	.text._ZN12_GLOBAL__N_129calculator_inverse_diagonal_tI21rocsparse_complex_numIdEiiE23kernel_inverse_diagonalILj1024ELb1EEEviPKiPKS2_21rocsparse_index_base_PS2_S6_iS9_Pi,"axG",@progbits,_ZN12_GLOBAL__N_129calculator_inverse_diagonal_tI21rocsparse_complex_numIdEiiE23kernel_inverse_diagonalILj1024ELb1EEEviPKiPKS2_21rocsparse_index_base_PS2_S6_iS9_Pi,comdat
	.globl	_ZN12_GLOBAL__N_129calculator_inverse_diagonal_tI21rocsparse_complex_numIdEiiE23kernel_inverse_diagonalILj1024ELb1EEEviPKiPKS2_21rocsparse_index_base_PS2_S6_iS9_Pi ; -- Begin function _ZN12_GLOBAL__N_129calculator_inverse_diagonal_tI21rocsparse_complex_numIdEiiE23kernel_inverse_diagonalILj1024ELb1EEEviPKiPKS2_21rocsparse_index_base_PS2_S6_iS9_Pi
	.p2align	8
	.type	_ZN12_GLOBAL__N_129calculator_inverse_diagonal_tI21rocsparse_complex_numIdEiiE23kernel_inverse_diagonalILj1024ELb1EEEviPKiPKS2_21rocsparse_index_base_PS2_S6_iS9_Pi,@function
_ZN12_GLOBAL__N_129calculator_inverse_diagonal_tI21rocsparse_complex_numIdEiiE23kernel_inverse_diagonalILj1024ELb1EEEviPKiPKS2_21rocsparse_index_base_PS2_S6_iS9_Pi: ; @_ZN12_GLOBAL__N_129calculator_inverse_diagonal_tI21rocsparse_complex_numIdEiiE23kernel_inverse_diagonalILj1024ELb1EEEviPKiPKS2_21rocsparse_index_base_PS2_S6_iS9_Pi
; %bb.0:
	s_load_b32 s2, s[0:1], 0x0
	s_bfe_u32 s3, ttmp6, 0x4000c
	s_and_b32 s4, ttmp6, 15
	s_add_co_i32 s3, s3, 1
	s_getreg_b32 s5, hwreg(HW_REG_IB_STS2, 6, 4)
	s_mul_i32 s3, ttmp9, s3
	s_delay_alu instid0(SALU_CYCLE_1) | instskip(SKIP_2) | instid1(SALU_CYCLE_1)
	s_add_co_i32 s4, s4, s3
	s_cmp_eq_u32 s5, 0
	s_cselect_b32 s3, ttmp9, s4
	v_lshl_or_b32 v8, s3, 10, v0
	s_wait_kmcnt 0x0
	s_delay_alu instid0(VALU_DEP_1)
	v_cmp_gt_i32_e32 vcc_lo, s2, v8
	s_and_saveexec_b32 s2, vcc_lo
	s_cbranch_execz .LBB10_18
; %bb.1:
	s_clause 0x1
	s_load_b128 s[4:7], s[0:1], 0x28
	s_load_b64 s[2:3], s[0:1], 0x38
	v_ashrrev_i32_e32 v9, 31, v8
	s_wait_kmcnt 0x0
	global_load_b32 v0, v8, s[4:5] scale_offset
	s_wait_xcnt 0x0
	s_load_b64 s[4:5], s[0:1], 0x8
	s_sub_co_i32 s6, s6, s7
	s_load_b32 s7, s[0:1], 0x18
	s_wait_loadcnt 0x0
	v_add_nc_u32_e32 v0, s6, v0
	s_wait_kmcnt 0x0
	global_load_b32 v1, v0, s[4:5] scale_offset
	s_wait_xcnt 0x0
	s_mov_b32 s4, exec_lo
	s_wait_loadcnt 0x0
	v_subrev_nc_u32_e32 v1, s7, v1
	s_delay_alu instid0(VALU_DEP_1)
	v_cmpx_ne_u32_e64 v1, v8
	s_xor_b32 s4, exec_lo, s4
	s_cbranch_execz .LBB10_7
; %bb.2:
	v_add_nc_u32_e32 v0, s7, v8
	s_mov_b32 s6, exec_lo
	s_brev_b32 s5, -2
.LBB10_3:                               ; =>This Inner Loop Header: Depth=1
	s_ctz_i32_b32 s8, s6
	s_delay_alu instid0(VALU_DEP_1) | instid1(SALU_CYCLE_1)
	v_readlane_b32 s9, v0, s8
	s_lshl_b32 s8, 1, s8
	s_delay_alu instid0(SALU_CYCLE_1)
	s_and_not1_b32 s6, s6, s8
	s_min_i32 s5, s5, s9
	s_cmp_lg_u32 s6, 0
	s_cbranch_scc1 .LBB10_3
; %bb.4:
	v_mbcnt_lo_u32_b32 v0, exec_lo, 0
	s_mov_b32 s6, exec_lo
	s_delay_alu instid0(VALU_DEP_1)
	v_cmpx_eq_u32_e32 0, v0
	s_xor_b32 s6, exec_lo, s6
	s_cbranch_execz .LBB10_6
; %bb.5:
	v_dual_mov_b32 v0, 0 :: v_dual_mov_b32 v1, s5
	global_atomic_min_i32 v0, v1, s[2:3] scope:SCOPE_DEV
.LBB10_6:
	s_wait_xcnt 0x0
	s_or_b32 exec_lo, exec_lo, s6
                                        ; implicit-def: $vgpr0
.LBB10_7:
	s_or_saveexec_b32 s6, s4
	s_load_b64 s[4:5], s[0:1], 0x20
	v_mov_b64_e32 v[6:7], 0
	v_mov_b64_e32 v[4:5], 1.0
	s_xor_b32 exec_lo, exec_lo, s6
	s_cbranch_execz .LBB10_17
; %bb.8:
	s_wait_xcnt 0x0
	s_load_b64 s[0:1], s[0:1], 0x10
	v_ashrrev_i32_e32 v1, 31, v0
	s_wait_kmcnt 0x0
	s_delay_alu instid0(VALU_DEP_1)
	v_lshl_add_u64 v[0:1], v[0:1], 4, s[0:1]
	global_load_b128 v[0:3], v[0:1], off
	s_wait_loadcnt 0x0
	v_cmp_eq_f64_e32 vcc_lo, 0, v[0:1]
	v_cmp_eq_f64_e64 s0, 0, v[2:3]
	s_and_b32 s0, vcc_lo, s0
	s_wait_xcnt 0x0
	s_and_saveexec_b32 s1, s0
	s_delay_alu instid0(SALU_CYCLE_1)
	s_xor_b32 s0, exec_lo, s1
	s_cbranch_execz .LBB10_14
; %bb.9:
	v_add_nc_u32_e32 v0, s7, v8
	s_mov_b32 s8, exec_lo
	s_brev_b32 s1, -2
.LBB10_10:                              ; =>This Inner Loop Header: Depth=1
	s_ctz_i32_b32 s7, s8
	s_delay_alu instid0(VALU_DEP_1) | instid1(SALU_CYCLE_1)
	v_readlane_b32 s9, v0, s7
	s_lshl_b32 s7, 1, s7
	s_delay_alu instid0(SALU_CYCLE_1)
	s_and_not1_b32 s8, s8, s7
	s_min_i32 s1, s1, s9
	s_cmp_lg_u32 s8, 0
	s_cbranch_scc1 .LBB10_10
; %bb.11:
	v_mbcnt_lo_u32_b32 v0, exec_lo, 0
	s_mov_b32 s7, exec_lo
	s_delay_alu instid0(VALU_DEP_1)
	v_cmpx_eq_u32_e32 0, v0
	s_xor_b32 s7, exec_lo, s7
	s_cbranch_execz .LBB10_13
; %bb.12:
	v_dual_mov_b32 v0, 0 :: v_dual_mov_b32 v1, s1
	global_atomic_min_i32 v0, v1, s[2:3] scope:SCOPE_DEV
.LBB10_13:
	s_wait_xcnt 0x0
	s_or_b32 exec_lo, exec_lo, s7
                                        ; implicit-def: $vgpr2_vgpr3
.LBB10_14:
	s_or_saveexec_b32 s0, s0
	v_mov_b64_e32 v[4:5], 1.0
	v_mov_b64_e32 v[6:7], 0
	s_xor_b32 exec_lo, exec_lo, s0
	s_cbranch_execz .LBB10_16
; %bb.15:
	v_mul_f64_e32 v[4:5], v[2:3], v[2:3]
	s_delay_alu instid0(VALU_DEP_1) | instskip(NEXT) | instid1(VALU_DEP_1)
	v_fmac_f64_e32 v[4:5], v[0:1], v[0:1]
	v_div_scale_f64 v[6:7], null, v[4:5], v[4:5], 1.0
	v_div_scale_f64 v[14:15], vcc_lo, 1.0, v[4:5], 1.0
	s_delay_alu instid0(VALU_DEP_2) | instskip(SKIP_1) | instid1(TRANS32_DEP_1)
	v_rcp_f64_e32 v[10:11], v[6:7]
	v_nop
	v_fma_f64 v[12:13], -v[6:7], v[10:11], 1.0
	s_delay_alu instid0(VALU_DEP_1) | instskip(NEXT) | instid1(VALU_DEP_1)
	v_fmac_f64_e32 v[10:11], v[10:11], v[12:13]
	v_fma_f64 v[12:13], -v[6:7], v[10:11], 1.0
	s_delay_alu instid0(VALU_DEP_1) | instskip(NEXT) | instid1(VALU_DEP_1)
	v_fmac_f64_e32 v[10:11], v[10:11], v[12:13]
	v_mul_f64_e32 v[12:13], v[14:15], v[10:11]
	s_delay_alu instid0(VALU_DEP_1) | instskip(NEXT) | instid1(VALU_DEP_1)
	v_fma_f64 v[6:7], -v[6:7], v[12:13], v[14:15]
	v_div_fmas_f64 v[6:7], v[6:7], v[10:11], v[12:13]
	v_fmamk_f64 v[10:11], v[2:3], 0x80000000, v[0:1]
	v_fmac_f64_e32 v[2:3], 0, v[0:1]
	s_delay_alu instid0(VALU_DEP_3) | instskip(NEXT) | instid1(VALU_DEP_1)
	v_div_fixup_f64 v[6:7], v[6:7], v[4:5], 1.0
	v_mul_f64_e32 v[4:5], v[10:11], v[6:7]
	s_delay_alu instid0(VALU_DEP_3)
	v_mul_f64_e32 v[6:7], v[2:3], v[6:7]
.LBB10_16:
	s_or_b32 exec_lo, exec_lo, s0
.LBB10_17:
	s_delay_alu instid0(SALU_CYCLE_1)
	s_or_b32 exec_lo, exec_lo, s6
	s_wait_kmcnt 0x0
	v_lshl_add_u64 v[0:1], v[8:9], 4, s[4:5]
	global_store_b128 v[0:1], v[4:7], off
.LBB10_18:
	s_endpgm
	.section	.rodata,"a",@progbits
	.p2align	6, 0x0
	.amdhsa_kernel _ZN12_GLOBAL__N_129calculator_inverse_diagonal_tI21rocsparse_complex_numIdEiiE23kernel_inverse_diagonalILj1024ELb1EEEviPKiPKS2_21rocsparse_index_base_PS2_S6_iS9_Pi
		.amdhsa_group_segment_fixed_size 0
		.amdhsa_private_segment_fixed_size 0
		.amdhsa_kernarg_size 64
		.amdhsa_user_sgpr_count 2
		.amdhsa_user_sgpr_dispatch_ptr 0
		.amdhsa_user_sgpr_queue_ptr 0
		.amdhsa_user_sgpr_kernarg_segment_ptr 1
		.amdhsa_user_sgpr_dispatch_id 0
		.amdhsa_user_sgpr_kernarg_preload_length 0
		.amdhsa_user_sgpr_kernarg_preload_offset 0
		.amdhsa_user_sgpr_private_segment_size 0
		.amdhsa_wavefront_size32 1
		.amdhsa_uses_dynamic_stack 0
		.amdhsa_enable_private_segment 0
		.amdhsa_system_sgpr_workgroup_id_x 1
		.amdhsa_system_sgpr_workgroup_id_y 0
		.amdhsa_system_sgpr_workgroup_id_z 0
		.amdhsa_system_sgpr_workgroup_info 0
		.amdhsa_system_vgpr_workitem_id 0
		.amdhsa_next_free_vgpr 16
		.amdhsa_next_free_sgpr 10
		.amdhsa_named_barrier_count 0
		.amdhsa_reserve_vcc 1
		.amdhsa_float_round_mode_32 0
		.amdhsa_float_round_mode_16_64 0
		.amdhsa_float_denorm_mode_32 3
		.amdhsa_float_denorm_mode_16_64 3
		.amdhsa_fp16_overflow 0
		.amdhsa_memory_ordered 1
		.amdhsa_forward_progress 1
		.amdhsa_inst_pref_size 6
		.amdhsa_round_robin_scheduling 0
		.amdhsa_exception_fp_ieee_invalid_op 0
		.amdhsa_exception_fp_denorm_src 0
		.amdhsa_exception_fp_ieee_div_zero 0
		.amdhsa_exception_fp_ieee_overflow 0
		.amdhsa_exception_fp_ieee_underflow 0
		.amdhsa_exception_fp_ieee_inexact 0
		.amdhsa_exception_int_div_zero 0
	.end_amdhsa_kernel
	.section	.text._ZN12_GLOBAL__N_129calculator_inverse_diagonal_tI21rocsparse_complex_numIdEiiE23kernel_inverse_diagonalILj1024ELb1EEEviPKiPKS2_21rocsparse_index_base_PS2_S6_iS9_Pi,"axG",@progbits,_ZN12_GLOBAL__N_129calculator_inverse_diagonal_tI21rocsparse_complex_numIdEiiE23kernel_inverse_diagonalILj1024ELb1EEEviPKiPKS2_21rocsparse_index_base_PS2_S6_iS9_Pi,comdat
.Lfunc_end10:
	.size	_ZN12_GLOBAL__N_129calculator_inverse_diagonal_tI21rocsparse_complex_numIdEiiE23kernel_inverse_diagonalILj1024ELb1EEEviPKiPKS2_21rocsparse_index_base_PS2_S6_iS9_Pi, .Lfunc_end10-_ZN12_GLOBAL__N_129calculator_inverse_diagonal_tI21rocsparse_complex_numIdEiiE23kernel_inverse_diagonalILj1024ELb1EEEviPKiPKS2_21rocsparse_index_base_PS2_S6_iS9_Pi
                                        ; -- End function
	.set _ZN12_GLOBAL__N_129calculator_inverse_diagonal_tI21rocsparse_complex_numIdEiiE23kernel_inverse_diagonalILj1024ELb1EEEviPKiPKS2_21rocsparse_index_base_PS2_S6_iS9_Pi.num_vgpr, 16
	.set _ZN12_GLOBAL__N_129calculator_inverse_diagonal_tI21rocsparse_complex_numIdEiiE23kernel_inverse_diagonalILj1024ELb1EEEviPKiPKS2_21rocsparse_index_base_PS2_S6_iS9_Pi.num_agpr, 0
	.set _ZN12_GLOBAL__N_129calculator_inverse_diagonal_tI21rocsparse_complex_numIdEiiE23kernel_inverse_diagonalILj1024ELb1EEEviPKiPKS2_21rocsparse_index_base_PS2_S6_iS9_Pi.numbered_sgpr, 10
	.set _ZN12_GLOBAL__N_129calculator_inverse_diagonal_tI21rocsparse_complex_numIdEiiE23kernel_inverse_diagonalILj1024ELb1EEEviPKiPKS2_21rocsparse_index_base_PS2_S6_iS9_Pi.num_named_barrier, 0
	.set _ZN12_GLOBAL__N_129calculator_inverse_diagonal_tI21rocsparse_complex_numIdEiiE23kernel_inverse_diagonalILj1024ELb1EEEviPKiPKS2_21rocsparse_index_base_PS2_S6_iS9_Pi.private_seg_size, 0
	.set _ZN12_GLOBAL__N_129calculator_inverse_diagonal_tI21rocsparse_complex_numIdEiiE23kernel_inverse_diagonalILj1024ELb1EEEviPKiPKS2_21rocsparse_index_base_PS2_S6_iS9_Pi.uses_vcc, 1
	.set _ZN12_GLOBAL__N_129calculator_inverse_diagonal_tI21rocsparse_complex_numIdEiiE23kernel_inverse_diagonalILj1024ELb1EEEviPKiPKS2_21rocsparse_index_base_PS2_S6_iS9_Pi.uses_flat_scratch, 0
	.set _ZN12_GLOBAL__N_129calculator_inverse_diagonal_tI21rocsparse_complex_numIdEiiE23kernel_inverse_diagonalILj1024ELb1EEEviPKiPKS2_21rocsparse_index_base_PS2_S6_iS9_Pi.has_dyn_sized_stack, 0
	.set _ZN12_GLOBAL__N_129calculator_inverse_diagonal_tI21rocsparse_complex_numIdEiiE23kernel_inverse_diagonalILj1024ELb1EEEviPKiPKS2_21rocsparse_index_base_PS2_S6_iS9_Pi.has_recursion, 0
	.set _ZN12_GLOBAL__N_129calculator_inverse_diagonal_tI21rocsparse_complex_numIdEiiE23kernel_inverse_diagonalILj1024ELb1EEEviPKiPKS2_21rocsparse_index_base_PS2_S6_iS9_Pi.has_indirect_call, 0
	.section	.AMDGPU.csdata,"",@progbits
; Kernel info:
; codeLenInByte = 724
; TotalNumSgprs: 12
; NumVgprs: 16
; ScratchSize: 0
; MemoryBound: 0
; FloatMode: 240
; IeeeMode: 1
; LDSByteSize: 0 bytes/workgroup (compile time only)
; SGPRBlocks: 0
; VGPRBlocks: 0
; NumSGPRsForWavesPerEU: 12
; NumVGPRsForWavesPerEU: 16
; NamedBarCnt: 0
; Occupancy: 16
; WaveLimiterHint : 1
; COMPUTE_PGM_RSRC2:SCRATCH_EN: 0
; COMPUTE_PGM_RSRC2:USER_SGPR: 2
; COMPUTE_PGM_RSRC2:TRAP_HANDLER: 0
; COMPUTE_PGM_RSRC2:TGID_X_EN: 1
; COMPUTE_PGM_RSRC2:TGID_Y_EN: 0
; COMPUTE_PGM_RSRC2:TGID_Z_EN: 0
; COMPUTE_PGM_RSRC2:TIDIG_COMP_CNT: 0
	.section	.text._ZN9rocsparseL26kernel_add_scaled_residualILj1024Ei21rocsparse_complex_numIdEEEvT0_PKT1_PS4_S6_,"axG",@progbits,_ZN9rocsparseL26kernel_add_scaled_residualILj1024Ei21rocsparse_complex_numIdEEEvT0_PKT1_PS4_S6_,comdat
	.globl	_ZN9rocsparseL26kernel_add_scaled_residualILj1024Ei21rocsparse_complex_numIdEEEvT0_PKT1_PS4_S6_ ; -- Begin function _ZN9rocsparseL26kernel_add_scaled_residualILj1024Ei21rocsparse_complex_numIdEEEvT0_PKT1_PS4_S6_
	.p2align	8
	.type	_ZN9rocsparseL26kernel_add_scaled_residualILj1024Ei21rocsparse_complex_numIdEEEvT0_PKT1_PS4_S6_,@function
_ZN9rocsparseL26kernel_add_scaled_residualILj1024Ei21rocsparse_complex_numIdEEEvT0_PKT1_PS4_S6_: ; @_ZN9rocsparseL26kernel_add_scaled_residualILj1024Ei21rocsparse_complex_numIdEEEvT0_PKT1_PS4_S6_
; %bb.0:
	s_load_b32 s2, s[0:1], 0x0
	s_bfe_u32 s3, ttmp6, 0x4000c
	s_and_b32 s4, ttmp6, 15
	s_add_co_i32 s3, s3, 1
	s_getreg_b32 s5, hwreg(HW_REG_IB_STS2, 6, 4)
	s_mul_i32 s3, ttmp9, s3
	s_delay_alu instid0(SALU_CYCLE_1) | instskip(SKIP_2) | instid1(SALU_CYCLE_1)
	s_add_co_i32 s4, s4, s3
	s_cmp_eq_u32 s5, 0
	s_cselect_b32 s3, ttmp9, s4
	v_lshl_or_b32 v0, s3, 10, v0
	s_wait_kmcnt 0x0
	s_delay_alu instid0(VALU_DEP_1)
	v_cmp_gt_u32_e32 vcc_lo, s2, v0
	s_and_saveexec_b32 s2, vcc_lo
	s_cbranch_execz .LBB11_2
; %bb.1:
	s_clause 0x1
	s_load_b128 s[4:7], s[0:1], 0x8
	s_load_b64 s[2:3], s[0:1], 0x18
	s_wait_kmcnt 0x0
	s_clause 0x2
	global_load_b128 v[2:5], v0, s[4:5] scale_offset
	global_load_b128 v[6:9], v0, s[2:3] scale_offset
	;; [unrolled: 1-line block ×3, first 2 shown]
	s_wait_loadcnt 0x1
	v_mul_f64_e64 v[14:15], v[4:5], -v[8:9]
	v_mul_f64_e32 v[4:5], v[4:5], v[6:7]
	s_delay_alu instid0(VALU_DEP_2) | instskip(NEXT) | instid1(VALU_DEP_2)
	v_fmac_f64_e32 v[14:15], v[6:7], v[2:3]
	v_fmac_f64_e32 v[4:5], v[8:9], v[2:3]
	s_wait_loadcnt 0x0
	s_delay_alu instid0(VALU_DEP_2) | instskip(NEXT) | instid1(VALU_DEP_2)
	v_add_f64_e32 v[2:3], v[10:11], v[14:15]
	v_add_f64_e32 v[4:5], v[4:5], v[12:13]
	global_store_b128 v0, v[2:5], s[6:7] scale_offset
.LBB11_2:
	s_endpgm
	.section	.rodata,"a",@progbits
	.p2align	6, 0x0
	.amdhsa_kernel _ZN9rocsparseL26kernel_add_scaled_residualILj1024Ei21rocsparse_complex_numIdEEEvT0_PKT1_PS4_S6_
		.amdhsa_group_segment_fixed_size 0
		.amdhsa_private_segment_fixed_size 0
		.amdhsa_kernarg_size 32
		.amdhsa_user_sgpr_count 2
		.amdhsa_user_sgpr_dispatch_ptr 0
		.amdhsa_user_sgpr_queue_ptr 0
		.amdhsa_user_sgpr_kernarg_segment_ptr 1
		.amdhsa_user_sgpr_dispatch_id 0
		.amdhsa_user_sgpr_kernarg_preload_length 0
		.amdhsa_user_sgpr_kernarg_preload_offset 0
		.amdhsa_user_sgpr_private_segment_size 0
		.amdhsa_wavefront_size32 1
		.amdhsa_uses_dynamic_stack 0
		.amdhsa_enable_private_segment 0
		.amdhsa_system_sgpr_workgroup_id_x 1
		.amdhsa_system_sgpr_workgroup_id_y 0
		.amdhsa_system_sgpr_workgroup_id_z 0
		.amdhsa_system_sgpr_workgroup_info 0
		.amdhsa_system_vgpr_workitem_id 0
		.amdhsa_next_free_vgpr 16
		.amdhsa_next_free_sgpr 8
		.amdhsa_named_barrier_count 0
		.amdhsa_reserve_vcc 1
		.amdhsa_float_round_mode_32 0
		.amdhsa_float_round_mode_16_64 0
		.amdhsa_float_denorm_mode_32 3
		.amdhsa_float_denorm_mode_16_64 3
		.amdhsa_fp16_overflow 0
		.amdhsa_memory_ordered 1
		.amdhsa_forward_progress 1
		.amdhsa_inst_pref_size 2
		.amdhsa_round_robin_scheduling 0
		.amdhsa_exception_fp_ieee_invalid_op 0
		.amdhsa_exception_fp_denorm_src 0
		.amdhsa_exception_fp_ieee_div_zero 0
		.amdhsa_exception_fp_ieee_overflow 0
		.amdhsa_exception_fp_ieee_underflow 0
		.amdhsa_exception_fp_ieee_inexact 0
		.amdhsa_exception_int_div_zero 0
	.end_amdhsa_kernel
	.section	.text._ZN9rocsparseL26kernel_add_scaled_residualILj1024Ei21rocsparse_complex_numIdEEEvT0_PKT1_PS4_S6_,"axG",@progbits,_ZN9rocsparseL26kernel_add_scaled_residualILj1024Ei21rocsparse_complex_numIdEEEvT0_PKT1_PS4_S6_,comdat
.Lfunc_end11:
	.size	_ZN9rocsparseL26kernel_add_scaled_residualILj1024Ei21rocsparse_complex_numIdEEEvT0_PKT1_PS4_S6_, .Lfunc_end11-_ZN9rocsparseL26kernel_add_scaled_residualILj1024Ei21rocsparse_complex_numIdEEEvT0_PKT1_PS4_S6_
                                        ; -- End function
	.set _ZN9rocsparseL26kernel_add_scaled_residualILj1024Ei21rocsparse_complex_numIdEEEvT0_PKT1_PS4_S6_.num_vgpr, 16
	.set _ZN9rocsparseL26kernel_add_scaled_residualILj1024Ei21rocsparse_complex_numIdEEEvT0_PKT1_PS4_S6_.num_agpr, 0
	.set _ZN9rocsparseL26kernel_add_scaled_residualILj1024Ei21rocsparse_complex_numIdEEEvT0_PKT1_PS4_S6_.numbered_sgpr, 8
	.set _ZN9rocsparseL26kernel_add_scaled_residualILj1024Ei21rocsparse_complex_numIdEEEvT0_PKT1_PS4_S6_.num_named_barrier, 0
	.set _ZN9rocsparseL26kernel_add_scaled_residualILj1024Ei21rocsparse_complex_numIdEEEvT0_PKT1_PS4_S6_.private_seg_size, 0
	.set _ZN9rocsparseL26kernel_add_scaled_residualILj1024Ei21rocsparse_complex_numIdEEEvT0_PKT1_PS4_S6_.uses_vcc, 1
	.set _ZN9rocsparseL26kernel_add_scaled_residualILj1024Ei21rocsparse_complex_numIdEEEvT0_PKT1_PS4_S6_.uses_flat_scratch, 0
	.set _ZN9rocsparseL26kernel_add_scaled_residualILj1024Ei21rocsparse_complex_numIdEEEvT0_PKT1_PS4_S6_.has_dyn_sized_stack, 0
	.set _ZN9rocsparseL26kernel_add_scaled_residualILj1024Ei21rocsparse_complex_numIdEEEvT0_PKT1_PS4_S6_.has_recursion, 0
	.set _ZN9rocsparseL26kernel_add_scaled_residualILj1024Ei21rocsparse_complex_numIdEEEvT0_PKT1_PS4_S6_.has_indirect_call, 0
	.section	.AMDGPU.csdata,"",@progbits
; Kernel info:
; codeLenInByte = 200
; TotalNumSgprs: 10
; NumVgprs: 16
; ScratchSize: 0
; MemoryBound: 0
; FloatMode: 240
; IeeeMode: 1
; LDSByteSize: 0 bytes/workgroup (compile time only)
; SGPRBlocks: 0
; VGPRBlocks: 0
; NumSGPRsForWavesPerEU: 10
; NumVGPRsForWavesPerEU: 16
; NamedBarCnt: 0
; Occupancy: 16
; WaveLimiterHint : 0
; COMPUTE_PGM_RSRC2:SCRATCH_EN: 0
; COMPUTE_PGM_RSRC2:USER_SGPR: 2
; COMPUTE_PGM_RSRC2:TRAP_HANDLER: 0
; COMPUTE_PGM_RSRC2:TGID_X_EN: 1
; COMPUTE_PGM_RSRC2:TGID_Y_EN: 0
; COMPUTE_PGM_RSRC2:TGID_Z_EN: 0
; COMPUTE_PGM_RSRC2:TIDIG_COMP_CNT: 0
	.section	.text._ZN12_GLOBAL__N_129calculator_inverse_diagonal_tIfliE23kernel_inverse_diagonalILj1024ELb0EEEviPKiPKf21rocsparse_index_base_PfPKliS7_Pi,"axG",@progbits,_ZN12_GLOBAL__N_129calculator_inverse_diagonal_tIfliE23kernel_inverse_diagonalILj1024ELb0EEEviPKiPKf21rocsparse_index_base_PfPKliS7_Pi,comdat
	.globl	_ZN12_GLOBAL__N_129calculator_inverse_diagonal_tIfliE23kernel_inverse_diagonalILj1024ELb0EEEviPKiPKf21rocsparse_index_base_PfPKliS7_Pi ; -- Begin function _ZN12_GLOBAL__N_129calculator_inverse_diagonal_tIfliE23kernel_inverse_diagonalILj1024ELb0EEEviPKiPKf21rocsparse_index_base_PfPKliS7_Pi
	.p2align	8
	.type	_ZN12_GLOBAL__N_129calculator_inverse_diagonal_tIfliE23kernel_inverse_diagonalILj1024ELb0EEEviPKiPKf21rocsparse_index_base_PfPKliS7_Pi,@function
_ZN12_GLOBAL__N_129calculator_inverse_diagonal_tIfliE23kernel_inverse_diagonalILj1024ELb0EEEviPKiPKf21rocsparse_index_base_PfPKliS7_Pi: ; @_ZN12_GLOBAL__N_129calculator_inverse_diagonal_tIfliE23kernel_inverse_diagonalILj1024ELb0EEEviPKiPKf21rocsparse_index_base_PfPKliS7_Pi
; %bb.0:
	s_load_b32 s2, s[0:1], 0x0
	s_bfe_u32 s3, ttmp6, 0x4000c
	s_and_b32 s4, ttmp6, 15
	s_add_co_i32 s3, s3, 1
	s_getreg_b32 s5, hwreg(HW_REG_IB_STS2, 6, 4)
	s_mul_i32 s3, ttmp9, s3
	s_delay_alu instid0(SALU_CYCLE_1) | instskip(SKIP_3) | instid1(SALU_CYCLE_1)
	s_add_co_i32 s4, s4, s3
	s_cmp_eq_u32 s5, 0
	s_mov_b32 s5, 0
	s_cselect_b32 s3, ttmp9, s4
	v_lshl_or_b32 v0, s3, 10, v0
	s_wait_kmcnt 0x0
	s_delay_alu instid0(VALU_DEP_1)
	v_cmp_gt_i32_e32 vcc_lo, s2, v0
	s_and_saveexec_b32 s2, vcc_lo
	s_cbranch_execz .LBB12_18
; %bb.1:
	s_clause 0x2
	s_load_b128 s[8:11], s[0:1], 0x28
	s_load_b64 s[2:3], s[0:1], 0x38
	s_load_b32 s7, s[0:1], 0x18
	s_wait_kmcnt 0x0
	global_load_b64 v[2:3], v0, s[8:9] scale_offset
	s_wait_xcnt 0x0
	s_load_b64 s[8:9], s[0:1], 0x8
	s_mov_b32 s4, s11
	s_ashr_i32 s11, s10, 31
	s_wait_loadcnt 0x0
	v_sub_nc_u64_e64 v[2:3], v[2:3], s[4:5]
	s_mov_b32 s4, exec_lo
	s_delay_alu instid0(VALU_DEP_1) | instskip(SKIP_1) | instid1(VALU_DEP_1)
	v_add_nc_u64_e32 v[2:3], s[10:11], v[2:3]
	s_wait_kmcnt 0x0
	v_lshl_add_u64 v[4:5], v[2:3], 2, s[8:9]
	global_load_b32 v1, v[4:5], off
	s_wait_loadcnt 0x0
	v_subrev_nc_u32_e32 v4, s7, v1
	v_ashrrev_i32_e32 v1, 31, v0
	s_delay_alu instid0(VALU_DEP_2)
	v_cmpx_ne_u32_e64 v4, v0
	s_xor_b32 s4, exec_lo, s4
	s_cbranch_execz .LBB12_7
; %bb.2:
	v_add_nc_u32_e32 v2, s7, v0
	s_mov_b32 s6, exec_lo
	s_brev_b32 s5, -2
.LBB12_3:                               ; =>This Inner Loop Header: Depth=1
	s_ctz_i32_b32 s8, s6
	s_delay_alu instid0(VALU_DEP_1) | instid1(SALU_CYCLE_1)
	v_readlane_b32 s9, v2, s8
	s_lshl_b32 s8, 1, s8
	s_delay_alu instid0(SALU_CYCLE_1)
	s_and_not1_b32 s6, s6, s8
	s_min_i32 s5, s5, s9
	s_cmp_lg_u32 s6, 0
	s_cbranch_scc1 .LBB12_3
; %bb.4:
	v_mbcnt_lo_u32_b32 v2, exec_lo, 0
	s_mov_b32 s6, exec_lo
	s_delay_alu instid0(VALU_DEP_1)
	v_cmpx_eq_u32_e32 0, v2
	s_xor_b32 s6, exec_lo, s6
	s_cbranch_execz .LBB12_6
; %bb.5:
	v_dual_mov_b32 v2, 0 :: v_dual_mov_b32 v3, s5
	global_atomic_min_i32 v2, v3, s[2:3] scope:SCOPE_DEV
.LBB12_6:
	s_wait_xcnt 0x0
	s_or_b32 exec_lo, exec_lo, s6
                                        ; implicit-def: $vgpr2_vgpr3
.LBB12_7:
	s_or_saveexec_b32 s6, s4
	s_load_b64 s[4:5], s[0:1], 0x20
	v_mov_b32_e32 v4, 1.0
	s_xor_b32 exec_lo, exec_lo, s6
	s_cbranch_execz .LBB12_17
; %bb.8:
	s_wait_xcnt 0x0
	s_load_b64 s[0:1], s[0:1], 0x10
	s_wait_kmcnt 0x0
	v_lshl_add_u64 v[2:3], v[2:3], 2, s[0:1]
	s_mov_b32 s0, exec_lo
	global_load_b32 v2, v[2:3], off
	s_wait_loadcnt 0x0
	v_cmpx_eq_f32_e32 0, v2
	s_xor_b32 s0, exec_lo, s0
	s_cbranch_execz .LBB12_14
; %bb.9:
	v_add_nc_u32_e32 v2, s7, v0
	s_mov_b32 s8, exec_lo
	s_brev_b32 s1, -2
.LBB12_10:                              ; =>This Inner Loop Header: Depth=1
	s_ctz_i32_b32 s7, s8
	s_delay_alu instid0(VALU_DEP_1) | instid1(SALU_CYCLE_1)
	v_readlane_b32 s9, v2, s7
	s_lshl_b32 s7, 1, s7
	s_delay_alu instid0(SALU_CYCLE_1)
	s_and_not1_b32 s8, s8, s7
	s_min_i32 s1, s1, s9
	s_cmp_lg_u32 s8, 0
	s_cbranch_scc1 .LBB12_10
; %bb.11:
	v_mbcnt_lo_u32_b32 v2, exec_lo, 0
	s_mov_b32 s7, exec_lo
	s_delay_alu instid0(VALU_DEP_1)
	v_cmpx_eq_u32_e32 0, v2
	s_xor_b32 s7, exec_lo, s7
	s_cbranch_execz .LBB12_13
; %bb.12:
	v_dual_mov_b32 v2, 0 :: v_dual_mov_b32 v3, s1
	global_atomic_min_i32 v2, v3, s[2:3] scope:SCOPE_DEV
.LBB12_13:
	s_wait_xcnt 0x0
	s_or_b32 exec_lo, exec_lo, s7
                                        ; implicit-def: $vgpr2
.LBB12_14:
	s_or_saveexec_b32 s0, s0
	v_mov_b32_e32 v4, 1.0
	s_xor_b32 exec_lo, exec_lo, s0
	s_cbranch_execz .LBB12_16
; %bb.15:
	v_div_scale_f32 v3, null, v2, v2, 1.0
	s_delay_alu instid0(VALU_DEP_1) | instskip(SKIP_1) | instid1(TRANS32_DEP_1)
	v_rcp_f32_e32 v4, v3
	v_nop
	v_fma_f32 v5, -v3, v4, 1.0
	s_delay_alu instid0(VALU_DEP_1) | instskip(SKIP_1) | instid1(VALU_DEP_1)
	v_fmac_f32_e32 v4, v5, v4
	v_div_scale_f32 v5, vcc_lo, 1.0, v2, 1.0
	v_mul_f32_e32 v6, v5, v4
	s_delay_alu instid0(VALU_DEP_1) | instskip(NEXT) | instid1(VALU_DEP_1)
	v_fma_f32 v7, -v3, v6, v5
	v_fmac_f32_e32 v6, v7, v4
	s_delay_alu instid0(VALU_DEP_1) | instskip(NEXT) | instid1(VALU_DEP_1)
	v_fma_f32 v3, -v3, v6, v5
	v_div_fmas_f32 v3, v3, v4, v6
	s_delay_alu instid0(VALU_DEP_1)
	v_div_fixup_f32 v4, v3, v2, 1.0
.LBB12_16:
	s_or_b32 exec_lo, exec_lo, s0
.LBB12_17:
	s_delay_alu instid0(SALU_CYCLE_1)
	s_or_b32 exec_lo, exec_lo, s6
	s_wait_kmcnt 0x0
	v_lshl_add_u64 v[0:1], v[0:1], 2, s[4:5]
	global_store_b32 v[0:1], v4, off
.LBB12_18:
	s_endpgm
	.section	.rodata,"a",@progbits
	.p2align	6, 0x0
	.amdhsa_kernel _ZN12_GLOBAL__N_129calculator_inverse_diagonal_tIfliE23kernel_inverse_diagonalILj1024ELb0EEEviPKiPKf21rocsparse_index_base_PfPKliS7_Pi
		.amdhsa_group_segment_fixed_size 0
		.amdhsa_private_segment_fixed_size 0
		.amdhsa_kernarg_size 64
		.amdhsa_user_sgpr_count 2
		.amdhsa_user_sgpr_dispatch_ptr 0
		.amdhsa_user_sgpr_queue_ptr 0
		.amdhsa_user_sgpr_kernarg_segment_ptr 1
		.amdhsa_user_sgpr_dispatch_id 0
		.amdhsa_user_sgpr_kernarg_preload_length 0
		.amdhsa_user_sgpr_kernarg_preload_offset 0
		.amdhsa_user_sgpr_private_segment_size 0
		.amdhsa_wavefront_size32 1
		.amdhsa_uses_dynamic_stack 0
		.amdhsa_enable_private_segment 0
		.amdhsa_system_sgpr_workgroup_id_x 1
		.amdhsa_system_sgpr_workgroup_id_y 0
		.amdhsa_system_sgpr_workgroup_id_z 0
		.amdhsa_system_sgpr_workgroup_info 0
		.amdhsa_system_vgpr_workitem_id 0
		.amdhsa_next_free_vgpr 8
		.amdhsa_next_free_sgpr 12
		.amdhsa_named_barrier_count 0
		.amdhsa_reserve_vcc 1
		.amdhsa_float_round_mode_32 0
		.amdhsa_float_round_mode_16_64 0
		.amdhsa_float_denorm_mode_32 3
		.amdhsa_float_denorm_mode_16_64 3
		.amdhsa_fp16_overflow 0
		.amdhsa_memory_ordered 1
		.amdhsa_forward_progress 1
		.amdhsa_inst_pref_size 6
		.amdhsa_round_robin_scheduling 0
		.amdhsa_exception_fp_ieee_invalid_op 0
		.amdhsa_exception_fp_denorm_src 0
		.amdhsa_exception_fp_ieee_div_zero 0
		.amdhsa_exception_fp_ieee_overflow 0
		.amdhsa_exception_fp_ieee_underflow 0
		.amdhsa_exception_fp_ieee_inexact 0
		.amdhsa_exception_int_div_zero 0
	.end_amdhsa_kernel
	.section	.text._ZN12_GLOBAL__N_129calculator_inverse_diagonal_tIfliE23kernel_inverse_diagonalILj1024ELb0EEEviPKiPKf21rocsparse_index_base_PfPKliS7_Pi,"axG",@progbits,_ZN12_GLOBAL__N_129calculator_inverse_diagonal_tIfliE23kernel_inverse_diagonalILj1024ELb0EEEviPKiPKf21rocsparse_index_base_PfPKliS7_Pi,comdat
.Lfunc_end12:
	.size	_ZN12_GLOBAL__N_129calculator_inverse_diagonal_tIfliE23kernel_inverse_diagonalILj1024ELb0EEEviPKiPKf21rocsparse_index_base_PfPKliS7_Pi, .Lfunc_end12-_ZN12_GLOBAL__N_129calculator_inverse_diagonal_tIfliE23kernel_inverse_diagonalILj1024ELb0EEEviPKiPKf21rocsparse_index_base_PfPKliS7_Pi
                                        ; -- End function
	.set _ZN12_GLOBAL__N_129calculator_inverse_diagonal_tIfliE23kernel_inverse_diagonalILj1024ELb0EEEviPKiPKf21rocsparse_index_base_PfPKliS7_Pi.num_vgpr, 8
	.set _ZN12_GLOBAL__N_129calculator_inverse_diagonal_tIfliE23kernel_inverse_diagonalILj1024ELb0EEEviPKiPKf21rocsparse_index_base_PfPKliS7_Pi.num_agpr, 0
	.set _ZN12_GLOBAL__N_129calculator_inverse_diagonal_tIfliE23kernel_inverse_diagonalILj1024ELb0EEEviPKiPKf21rocsparse_index_base_PfPKliS7_Pi.numbered_sgpr, 12
	.set _ZN12_GLOBAL__N_129calculator_inverse_diagonal_tIfliE23kernel_inverse_diagonalILj1024ELb0EEEviPKiPKf21rocsparse_index_base_PfPKliS7_Pi.num_named_barrier, 0
	.set _ZN12_GLOBAL__N_129calculator_inverse_diagonal_tIfliE23kernel_inverse_diagonalILj1024ELb0EEEviPKiPKf21rocsparse_index_base_PfPKliS7_Pi.private_seg_size, 0
	.set _ZN12_GLOBAL__N_129calculator_inverse_diagonal_tIfliE23kernel_inverse_diagonalILj1024ELb0EEEviPKiPKf21rocsparse_index_base_PfPKliS7_Pi.uses_vcc, 1
	.set _ZN12_GLOBAL__N_129calculator_inverse_diagonal_tIfliE23kernel_inverse_diagonalILj1024ELb0EEEviPKiPKf21rocsparse_index_base_PfPKliS7_Pi.uses_flat_scratch, 0
	.set _ZN12_GLOBAL__N_129calculator_inverse_diagonal_tIfliE23kernel_inverse_diagonalILj1024ELb0EEEviPKiPKf21rocsparse_index_base_PfPKliS7_Pi.has_dyn_sized_stack, 0
	.set _ZN12_GLOBAL__N_129calculator_inverse_diagonal_tIfliE23kernel_inverse_diagonalILj1024ELb0EEEviPKiPKf21rocsparse_index_base_PfPKliS7_Pi.has_recursion, 0
	.set _ZN12_GLOBAL__N_129calculator_inverse_diagonal_tIfliE23kernel_inverse_diagonalILj1024ELb0EEEviPKiPKf21rocsparse_index_base_PfPKliS7_Pi.has_indirect_call, 0
	.section	.AMDGPU.csdata,"",@progbits
; Kernel info:
; codeLenInByte = 672
; TotalNumSgprs: 14
; NumVgprs: 8
; ScratchSize: 0
; MemoryBound: 0
; FloatMode: 240
; IeeeMode: 1
; LDSByteSize: 0 bytes/workgroup (compile time only)
; SGPRBlocks: 0
; VGPRBlocks: 0
; NumSGPRsForWavesPerEU: 14
; NumVGPRsForWavesPerEU: 8
; NamedBarCnt: 0
; Occupancy: 16
; WaveLimiterHint : 1
; COMPUTE_PGM_RSRC2:SCRATCH_EN: 0
; COMPUTE_PGM_RSRC2:USER_SGPR: 2
; COMPUTE_PGM_RSRC2:TRAP_HANDLER: 0
; COMPUTE_PGM_RSRC2:TGID_X_EN: 1
; COMPUTE_PGM_RSRC2:TGID_Y_EN: 0
; COMPUTE_PGM_RSRC2:TGID_Z_EN: 0
; COMPUTE_PGM_RSRC2:TIDIG_COMP_CNT: 0
	.section	.text._ZN12_GLOBAL__N_129calculator_inverse_diagonal_tIfliE23kernel_inverse_diagonalILj1024ELb1EEEviPKiPKf21rocsparse_index_base_PfPKliS7_Pi,"axG",@progbits,_ZN12_GLOBAL__N_129calculator_inverse_diagonal_tIfliE23kernel_inverse_diagonalILj1024ELb1EEEviPKiPKf21rocsparse_index_base_PfPKliS7_Pi,comdat
	.globl	_ZN12_GLOBAL__N_129calculator_inverse_diagonal_tIfliE23kernel_inverse_diagonalILj1024ELb1EEEviPKiPKf21rocsparse_index_base_PfPKliS7_Pi ; -- Begin function _ZN12_GLOBAL__N_129calculator_inverse_diagonal_tIfliE23kernel_inverse_diagonalILj1024ELb1EEEviPKiPKf21rocsparse_index_base_PfPKliS7_Pi
	.p2align	8
	.type	_ZN12_GLOBAL__N_129calculator_inverse_diagonal_tIfliE23kernel_inverse_diagonalILj1024ELb1EEEviPKiPKf21rocsparse_index_base_PfPKliS7_Pi,@function
_ZN12_GLOBAL__N_129calculator_inverse_diagonal_tIfliE23kernel_inverse_diagonalILj1024ELb1EEEviPKiPKf21rocsparse_index_base_PfPKliS7_Pi: ; @_ZN12_GLOBAL__N_129calculator_inverse_diagonal_tIfliE23kernel_inverse_diagonalILj1024ELb1EEEviPKiPKf21rocsparse_index_base_PfPKliS7_Pi
; %bb.0:
	s_load_b32 s2, s[0:1], 0x0
	s_bfe_u32 s3, ttmp6, 0x4000c
	s_and_b32 s4, ttmp6, 15
	s_add_co_i32 s3, s3, 1
	s_getreg_b32 s5, hwreg(HW_REG_IB_STS2, 6, 4)
	s_mul_i32 s3, ttmp9, s3
	s_delay_alu instid0(SALU_CYCLE_1) | instskip(SKIP_3) | instid1(SALU_CYCLE_1)
	s_add_co_i32 s4, s4, s3
	s_cmp_eq_u32 s5, 0
	s_mov_b32 s5, 0
	s_cselect_b32 s3, ttmp9, s4
	v_lshl_or_b32 v0, s3, 10, v0
	s_wait_kmcnt 0x0
	s_delay_alu instid0(VALU_DEP_1)
	v_cmp_gt_i32_e32 vcc_lo, s2, v0
	s_and_saveexec_b32 s2, vcc_lo
	s_cbranch_execz .LBB13_18
; %bb.1:
	s_clause 0x2
	s_load_b128 s[8:11], s[0:1], 0x28
	s_load_b64 s[2:3], s[0:1], 0x38
	s_load_b32 s7, s[0:1], 0x18
	s_wait_kmcnt 0x0
	global_load_b64 v[2:3], v0, s[8:9] scale_offset
	s_wait_xcnt 0x0
	s_load_b64 s[8:9], s[0:1], 0x8
	s_mov_b32 s4, s11
	s_ashr_i32 s11, s10, 31
	s_wait_loadcnt 0x0
	v_sub_nc_u64_e64 v[2:3], v[2:3], s[4:5]
	s_mov_b32 s4, exec_lo
	s_delay_alu instid0(VALU_DEP_1) | instskip(SKIP_1) | instid1(VALU_DEP_1)
	v_add_nc_u64_e32 v[2:3], s[10:11], v[2:3]
	s_wait_kmcnt 0x0
	v_lshl_add_u64 v[4:5], v[2:3], 2, s[8:9]
	global_load_b32 v1, v[4:5], off
	s_wait_loadcnt 0x0
	v_subrev_nc_u32_e32 v4, s7, v1
	v_ashrrev_i32_e32 v1, 31, v0
	s_delay_alu instid0(VALU_DEP_2)
	v_cmpx_ne_u32_e64 v4, v0
	s_xor_b32 s4, exec_lo, s4
	s_cbranch_execz .LBB13_7
; %bb.2:
	v_add_nc_u32_e32 v2, s7, v0
	s_mov_b32 s6, exec_lo
	s_brev_b32 s5, -2
.LBB13_3:                               ; =>This Inner Loop Header: Depth=1
	s_ctz_i32_b32 s8, s6
	s_delay_alu instid0(VALU_DEP_1) | instid1(SALU_CYCLE_1)
	v_readlane_b32 s9, v2, s8
	s_lshl_b32 s8, 1, s8
	s_delay_alu instid0(SALU_CYCLE_1)
	s_and_not1_b32 s6, s6, s8
	s_min_i32 s5, s5, s9
	s_cmp_lg_u32 s6, 0
	s_cbranch_scc1 .LBB13_3
; %bb.4:
	v_mbcnt_lo_u32_b32 v2, exec_lo, 0
	s_mov_b32 s6, exec_lo
	s_delay_alu instid0(VALU_DEP_1)
	v_cmpx_eq_u32_e32 0, v2
	s_xor_b32 s6, exec_lo, s6
	s_cbranch_execz .LBB13_6
; %bb.5:
	v_dual_mov_b32 v2, 0 :: v_dual_mov_b32 v3, s5
	global_atomic_min_i32 v2, v3, s[2:3] scope:SCOPE_DEV
.LBB13_6:
	s_wait_xcnt 0x0
	s_or_b32 exec_lo, exec_lo, s6
                                        ; implicit-def: $vgpr2_vgpr3
.LBB13_7:
	s_or_saveexec_b32 s6, s4
	s_load_b64 s[4:5], s[0:1], 0x20
	v_mov_b32_e32 v4, 1.0
	s_xor_b32 exec_lo, exec_lo, s6
	s_cbranch_execz .LBB13_17
; %bb.8:
	s_wait_xcnt 0x0
	s_load_b64 s[0:1], s[0:1], 0x10
	s_wait_kmcnt 0x0
	v_lshl_add_u64 v[2:3], v[2:3], 2, s[0:1]
	s_mov_b32 s0, exec_lo
	global_load_b32 v2, v[2:3], off
	s_wait_loadcnt 0x0
	v_cmpx_eq_f32_e32 0, v2
	s_xor_b32 s0, exec_lo, s0
	s_cbranch_execz .LBB13_14
; %bb.9:
	v_add_nc_u32_e32 v2, s7, v0
	s_mov_b32 s8, exec_lo
	s_brev_b32 s1, -2
.LBB13_10:                              ; =>This Inner Loop Header: Depth=1
	s_ctz_i32_b32 s7, s8
	s_delay_alu instid0(VALU_DEP_1) | instid1(SALU_CYCLE_1)
	v_readlane_b32 s9, v2, s7
	s_lshl_b32 s7, 1, s7
	s_delay_alu instid0(SALU_CYCLE_1)
	s_and_not1_b32 s8, s8, s7
	s_min_i32 s1, s1, s9
	s_cmp_lg_u32 s8, 0
	s_cbranch_scc1 .LBB13_10
; %bb.11:
	v_mbcnt_lo_u32_b32 v2, exec_lo, 0
	s_mov_b32 s7, exec_lo
	s_delay_alu instid0(VALU_DEP_1)
	v_cmpx_eq_u32_e32 0, v2
	s_xor_b32 s7, exec_lo, s7
	s_cbranch_execz .LBB13_13
; %bb.12:
	v_dual_mov_b32 v2, 0 :: v_dual_mov_b32 v3, s1
	global_atomic_min_i32 v2, v3, s[2:3] scope:SCOPE_DEV
.LBB13_13:
	s_wait_xcnt 0x0
	s_or_b32 exec_lo, exec_lo, s7
                                        ; implicit-def: $vgpr2
.LBB13_14:
	s_or_saveexec_b32 s0, s0
	v_mov_b32_e32 v4, 1.0
	s_xor_b32 exec_lo, exec_lo, s0
	s_cbranch_execz .LBB13_16
; %bb.15:
	v_div_scale_f32 v3, null, v2, v2, 1.0
	s_delay_alu instid0(VALU_DEP_1) | instskip(SKIP_1) | instid1(TRANS32_DEP_1)
	v_rcp_f32_e32 v4, v3
	v_nop
	v_fma_f32 v5, -v3, v4, 1.0
	s_delay_alu instid0(VALU_DEP_1) | instskip(SKIP_1) | instid1(VALU_DEP_1)
	v_fmac_f32_e32 v4, v5, v4
	v_div_scale_f32 v5, vcc_lo, 1.0, v2, 1.0
	v_mul_f32_e32 v6, v5, v4
	s_delay_alu instid0(VALU_DEP_1) | instskip(NEXT) | instid1(VALU_DEP_1)
	v_fma_f32 v7, -v3, v6, v5
	v_fmac_f32_e32 v6, v7, v4
	s_delay_alu instid0(VALU_DEP_1) | instskip(NEXT) | instid1(VALU_DEP_1)
	v_fma_f32 v3, -v3, v6, v5
	v_div_fmas_f32 v3, v3, v4, v6
	s_delay_alu instid0(VALU_DEP_1)
	v_div_fixup_f32 v4, v3, v2, 1.0
.LBB13_16:
	s_or_b32 exec_lo, exec_lo, s0
.LBB13_17:
	s_delay_alu instid0(SALU_CYCLE_1)
	s_or_b32 exec_lo, exec_lo, s6
	s_wait_kmcnt 0x0
	v_lshl_add_u64 v[0:1], v[0:1], 2, s[4:5]
	global_store_b32 v[0:1], v4, off
.LBB13_18:
	s_endpgm
	.section	.rodata,"a",@progbits
	.p2align	6, 0x0
	.amdhsa_kernel _ZN12_GLOBAL__N_129calculator_inverse_diagonal_tIfliE23kernel_inverse_diagonalILj1024ELb1EEEviPKiPKf21rocsparse_index_base_PfPKliS7_Pi
		.amdhsa_group_segment_fixed_size 0
		.amdhsa_private_segment_fixed_size 0
		.amdhsa_kernarg_size 64
		.amdhsa_user_sgpr_count 2
		.amdhsa_user_sgpr_dispatch_ptr 0
		.amdhsa_user_sgpr_queue_ptr 0
		.amdhsa_user_sgpr_kernarg_segment_ptr 1
		.amdhsa_user_sgpr_dispatch_id 0
		.amdhsa_user_sgpr_kernarg_preload_length 0
		.amdhsa_user_sgpr_kernarg_preload_offset 0
		.amdhsa_user_sgpr_private_segment_size 0
		.amdhsa_wavefront_size32 1
		.amdhsa_uses_dynamic_stack 0
		.amdhsa_enable_private_segment 0
		.amdhsa_system_sgpr_workgroup_id_x 1
		.amdhsa_system_sgpr_workgroup_id_y 0
		.amdhsa_system_sgpr_workgroup_id_z 0
		.amdhsa_system_sgpr_workgroup_info 0
		.amdhsa_system_vgpr_workitem_id 0
		.amdhsa_next_free_vgpr 8
		.amdhsa_next_free_sgpr 12
		.amdhsa_named_barrier_count 0
		.amdhsa_reserve_vcc 1
		.amdhsa_float_round_mode_32 0
		.amdhsa_float_round_mode_16_64 0
		.amdhsa_float_denorm_mode_32 3
		.amdhsa_float_denorm_mode_16_64 3
		.amdhsa_fp16_overflow 0
		.amdhsa_memory_ordered 1
		.amdhsa_forward_progress 1
		.amdhsa_inst_pref_size 6
		.amdhsa_round_robin_scheduling 0
		.amdhsa_exception_fp_ieee_invalid_op 0
		.amdhsa_exception_fp_denorm_src 0
		.amdhsa_exception_fp_ieee_div_zero 0
		.amdhsa_exception_fp_ieee_overflow 0
		.amdhsa_exception_fp_ieee_underflow 0
		.amdhsa_exception_fp_ieee_inexact 0
		.amdhsa_exception_int_div_zero 0
	.end_amdhsa_kernel
	.section	.text._ZN12_GLOBAL__N_129calculator_inverse_diagonal_tIfliE23kernel_inverse_diagonalILj1024ELb1EEEviPKiPKf21rocsparse_index_base_PfPKliS7_Pi,"axG",@progbits,_ZN12_GLOBAL__N_129calculator_inverse_diagonal_tIfliE23kernel_inverse_diagonalILj1024ELb1EEEviPKiPKf21rocsparse_index_base_PfPKliS7_Pi,comdat
.Lfunc_end13:
	.size	_ZN12_GLOBAL__N_129calculator_inverse_diagonal_tIfliE23kernel_inverse_diagonalILj1024ELb1EEEviPKiPKf21rocsparse_index_base_PfPKliS7_Pi, .Lfunc_end13-_ZN12_GLOBAL__N_129calculator_inverse_diagonal_tIfliE23kernel_inverse_diagonalILj1024ELb1EEEviPKiPKf21rocsparse_index_base_PfPKliS7_Pi
                                        ; -- End function
	.set _ZN12_GLOBAL__N_129calculator_inverse_diagonal_tIfliE23kernel_inverse_diagonalILj1024ELb1EEEviPKiPKf21rocsparse_index_base_PfPKliS7_Pi.num_vgpr, 8
	.set _ZN12_GLOBAL__N_129calculator_inverse_diagonal_tIfliE23kernel_inverse_diagonalILj1024ELb1EEEviPKiPKf21rocsparse_index_base_PfPKliS7_Pi.num_agpr, 0
	.set _ZN12_GLOBAL__N_129calculator_inverse_diagonal_tIfliE23kernel_inverse_diagonalILj1024ELb1EEEviPKiPKf21rocsparse_index_base_PfPKliS7_Pi.numbered_sgpr, 12
	.set _ZN12_GLOBAL__N_129calculator_inverse_diagonal_tIfliE23kernel_inverse_diagonalILj1024ELb1EEEviPKiPKf21rocsparse_index_base_PfPKliS7_Pi.num_named_barrier, 0
	.set _ZN12_GLOBAL__N_129calculator_inverse_diagonal_tIfliE23kernel_inverse_diagonalILj1024ELb1EEEviPKiPKf21rocsparse_index_base_PfPKliS7_Pi.private_seg_size, 0
	.set _ZN12_GLOBAL__N_129calculator_inverse_diagonal_tIfliE23kernel_inverse_diagonalILj1024ELb1EEEviPKiPKf21rocsparse_index_base_PfPKliS7_Pi.uses_vcc, 1
	.set _ZN12_GLOBAL__N_129calculator_inverse_diagonal_tIfliE23kernel_inverse_diagonalILj1024ELb1EEEviPKiPKf21rocsparse_index_base_PfPKliS7_Pi.uses_flat_scratch, 0
	.set _ZN12_GLOBAL__N_129calculator_inverse_diagonal_tIfliE23kernel_inverse_diagonalILj1024ELb1EEEviPKiPKf21rocsparse_index_base_PfPKliS7_Pi.has_dyn_sized_stack, 0
	.set _ZN12_GLOBAL__N_129calculator_inverse_diagonal_tIfliE23kernel_inverse_diagonalILj1024ELb1EEEviPKiPKf21rocsparse_index_base_PfPKliS7_Pi.has_recursion, 0
	.set _ZN12_GLOBAL__N_129calculator_inverse_diagonal_tIfliE23kernel_inverse_diagonalILj1024ELb1EEEviPKiPKf21rocsparse_index_base_PfPKliS7_Pi.has_indirect_call, 0
	.section	.AMDGPU.csdata,"",@progbits
; Kernel info:
; codeLenInByte = 672
; TotalNumSgprs: 14
; NumVgprs: 8
; ScratchSize: 0
; MemoryBound: 0
; FloatMode: 240
; IeeeMode: 1
; LDSByteSize: 0 bytes/workgroup (compile time only)
; SGPRBlocks: 0
; VGPRBlocks: 0
; NumSGPRsForWavesPerEU: 14
; NumVGPRsForWavesPerEU: 8
; NamedBarCnt: 0
; Occupancy: 16
; WaveLimiterHint : 1
; COMPUTE_PGM_RSRC2:SCRATCH_EN: 0
; COMPUTE_PGM_RSRC2:USER_SGPR: 2
; COMPUTE_PGM_RSRC2:TRAP_HANDLER: 0
; COMPUTE_PGM_RSRC2:TGID_X_EN: 1
; COMPUTE_PGM_RSRC2:TGID_Y_EN: 0
; COMPUTE_PGM_RSRC2:TGID_Z_EN: 0
; COMPUTE_PGM_RSRC2:TIDIG_COMP_CNT: 0
	.section	.text._ZN12_GLOBAL__N_129calculator_inverse_diagonal_tIdliE23kernel_inverse_diagonalILj1024ELb0EEEviPKiPKd21rocsparse_index_base_PdPKliS7_Pi,"axG",@progbits,_ZN12_GLOBAL__N_129calculator_inverse_diagonal_tIdliE23kernel_inverse_diagonalILj1024ELb0EEEviPKiPKd21rocsparse_index_base_PdPKliS7_Pi,comdat
	.globl	_ZN12_GLOBAL__N_129calculator_inverse_diagonal_tIdliE23kernel_inverse_diagonalILj1024ELb0EEEviPKiPKd21rocsparse_index_base_PdPKliS7_Pi ; -- Begin function _ZN12_GLOBAL__N_129calculator_inverse_diagonal_tIdliE23kernel_inverse_diagonalILj1024ELb0EEEviPKiPKd21rocsparse_index_base_PdPKliS7_Pi
	.p2align	8
	.type	_ZN12_GLOBAL__N_129calculator_inverse_diagonal_tIdliE23kernel_inverse_diagonalILj1024ELb0EEEviPKiPKd21rocsparse_index_base_PdPKliS7_Pi,@function
_ZN12_GLOBAL__N_129calculator_inverse_diagonal_tIdliE23kernel_inverse_diagonalILj1024ELb0EEEviPKiPKd21rocsparse_index_base_PdPKliS7_Pi: ; @_ZN12_GLOBAL__N_129calculator_inverse_diagonal_tIdliE23kernel_inverse_diagonalILj1024ELb0EEEviPKiPKd21rocsparse_index_base_PdPKliS7_Pi
; %bb.0:
	s_load_b32 s2, s[0:1], 0x0
	s_bfe_u32 s3, ttmp6, 0x4000c
	s_and_b32 s4, ttmp6, 15
	s_add_co_i32 s3, s3, 1
	s_getreg_b32 s5, hwreg(HW_REG_IB_STS2, 6, 4)
	s_mul_i32 s3, ttmp9, s3
	s_delay_alu instid0(SALU_CYCLE_1) | instskip(SKIP_3) | instid1(SALU_CYCLE_1)
	s_add_co_i32 s4, s4, s3
	s_cmp_eq_u32 s5, 0
	s_mov_b32 s5, 0
	s_cselect_b32 s3, ttmp9, s4
	v_lshl_or_b32 v0, s3, 10, v0
	s_wait_kmcnt 0x0
	s_delay_alu instid0(VALU_DEP_1)
	v_cmp_gt_i32_e32 vcc_lo, s2, v0
	s_and_saveexec_b32 s2, vcc_lo
	s_cbranch_execz .LBB14_18
; %bb.1:
	s_clause 0x2
	s_load_b128 s[8:11], s[0:1], 0x28
	s_load_b64 s[2:3], s[0:1], 0x38
	s_load_b32 s7, s[0:1], 0x18
	s_wait_kmcnt 0x0
	global_load_b64 v[2:3], v0, s[8:9] scale_offset
	s_wait_xcnt 0x0
	s_load_b64 s[8:9], s[0:1], 0x8
	s_mov_b32 s4, s11
	s_ashr_i32 s11, s10, 31
	s_wait_loadcnt 0x0
	v_sub_nc_u64_e64 v[2:3], v[2:3], s[4:5]
	s_mov_b32 s4, exec_lo
	s_delay_alu instid0(VALU_DEP_1) | instskip(SKIP_1) | instid1(VALU_DEP_1)
	v_add_nc_u64_e32 v[2:3], s[10:11], v[2:3]
	s_wait_kmcnt 0x0
	v_lshl_add_u64 v[4:5], v[2:3], 2, s[8:9]
	global_load_b32 v1, v[4:5], off
	s_wait_loadcnt 0x0
	v_subrev_nc_u32_e32 v4, s7, v1
	v_ashrrev_i32_e32 v1, 31, v0
	s_delay_alu instid0(VALU_DEP_2)
	v_cmpx_ne_u32_e64 v4, v0
	s_xor_b32 s4, exec_lo, s4
	s_cbranch_execz .LBB14_7
; %bb.2:
	v_add_nc_u32_e32 v2, s7, v0
	s_mov_b32 s6, exec_lo
	s_brev_b32 s5, -2
.LBB14_3:                               ; =>This Inner Loop Header: Depth=1
	s_ctz_i32_b32 s8, s6
	s_delay_alu instid0(VALU_DEP_1) | instid1(SALU_CYCLE_1)
	v_readlane_b32 s9, v2, s8
	s_lshl_b32 s8, 1, s8
	s_delay_alu instid0(SALU_CYCLE_1)
	s_and_not1_b32 s6, s6, s8
	s_min_i32 s5, s5, s9
	s_cmp_lg_u32 s6, 0
	s_cbranch_scc1 .LBB14_3
; %bb.4:
	v_mbcnt_lo_u32_b32 v2, exec_lo, 0
	s_mov_b32 s6, exec_lo
	s_delay_alu instid0(VALU_DEP_1)
	v_cmpx_eq_u32_e32 0, v2
	s_xor_b32 s6, exec_lo, s6
	s_cbranch_execz .LBB14_6
; %bb.5:
	v_dual_mov_b32 v2, 0 :: v_dual_mov_b32 v3, s5
	global_atomic_min_i32 v2, v3, s[2:3] scope:SCOPE_DEV
.LBB14_6:
	s_wait_xcnt 0x0
	s_or_b32 exec_lo, exec_lo, s6
                                        ; implicit-def: $vgpr2_vgpr3
.LBB14_7:
	s_or_saveexec_b32 s6, s4
	s_load_b64 s[4:5], s[0:1], 0x20
	v_mov_b64_e32 v[4:5], 1.0
	s_xor_b32 exec_lo, exec_lo, s6
	s_cbranch_execz .LBB14_17
; %bb.8:
	s_wait_xcnt 0x0
	s_load_b64 s[0:1], s[0:1], 0x10
	s_wait_kmcnt 0x0
	v_lshl_add_u64 v[2:3], v[2:3], 3, s[0:1]
	s_mov_b32 s0, exec_lo
	global_load_b64 v[2:3], v[2:3], off
	s_wait_loadcnt 0x0
	v_cmpx_eq_f64_e32 0, v[2:3]
	s_xor_b32 s0, exec_lo, s0
	s_cbranch_execz .LBB14_14
; %bb.9:
	v_add_nc_u32_e32 v2, s7, v0
	s_mov_b32 s8, exec_lo
	s_brev_b32 s1, -2
.LBB14_10:                              ; =>This Inner Loop Header: Depth=1
	s_ctz_i32_b32 s7, s8
	s_delay_alu instid0(VALU_DEP_1) | instid1(SALU_CYCLE_1)
	v_readlane_b32 s9, v2, s7
	s_lshl_b32 s7, 1, s7
	s_delay_alu instid0(SALU_CYCLE_1)
	s_and_not1_b32 s8, s8, s7
	s_min_i32 s1, s1, s9
	s_cmp_lg_u32 s8, 0
	s_cbranch_scc1 .LBB14_10
; %bb.11:
	v_mbcnt_lo_u32_b32 v2, exec_lo, 0
	s_mov_b32 s7, exec_lo
	s_delay_alu instid0(VALU_DEP_1)
	v_cmpx_eq_u32_e32 0, v2
	s_xor_b32 s7, exec_lo, s7
	s_cbranch_execz .LBB14_13
; %bb.12:
	v_dual_mov_b32 v2, 0 :: v_dual_mov_b32 v3, s1
	global_atomic_min_i32 v2, v3, s[2:3] scope:SCOPE_DEV
.LBB14_13:
	s_wait_xcnt 0x0
	s_or_b32 exec_lo, exec_lo, s7
                                        ; implicit-def: $vgpr2_vgpr3
.LBB14_14:
	s_or_saveexec_b32 s0, s0
	v_mov_b64_e32 v[4:5], 1.0
	s_xor_b32 exec_lo, exec_lo, s0
	s_cbranch_execz .LBB14_16
; %bb.15:
	v_div_scale_f64 v[4:5], null, v[2:3], v[2:3], 1.0
	s_delay_alu instid0(VALU_DEP_1) | instskip(SKIP_1) | instid1(TRANS32_DEP_1)
	v_rcp_f64_e32 v[6:7], v[4:5]
	v_nop
	v_fma_f64 v[8:9], -v[4:5], v[6:7], 1.0
	s_delay_alu instid0(VALU_DEP_1) | instskip(NEXT) | instid1(VALU_DEP_1)
	v_fmac_f64_e32 v[6:7], v[6:7], v[8:9]
	v_fma_f64 v[8:9], -v[4:5], v[6:7], 1.0
	s_delay_alu instid0(VALU_DEP_1) | instskip(SKIP_1) | instid1(VALU_DEP_1)
	v_fmac_f64_e32 v[6:7], v[6:7], v[8:9]
	v_div_scale_f64 v[8:9], vcc_lo, 1.0, v[2:3], 1.0
	v_mul_f64_e32 v[10:11], v[8:9], v[6:7]
	s_delay_alu instid0(VALU_DEP_1) | instskip(NEXT) | instid1(VALU_DEP_1)
	v_fma_f64 v[4:5], -v[4:5], v[10:11], v[8:9]
	v_div_fmas_f64 v[4:5], v[4:5], v[6:7], v[10:11]
	s_delay_alu instid0(VALU_DEP_1)
	v_div_fixup_f64 v[4:5], v[4:5], v[2:3], 1.0
.LBB14_16:
	s_or_b32 exec_lo, exec_lo, s0
.LBB14_17:
	s_delay_alu instid0(SALU_CYCLE_1)
	s_or_b32 exec_lo, exec_lo, s6
	s_wait_kmcnt 0x0
	v_lshl_add_u64 v[0:1], v[0:1], 3, s[4:5]
	global_store_b64 v[0:1], v[4:5], off
.LBB14_18:
	s_endpgm
	.section	.rodata,"a",@progbits
	.p2align	6, 0x0
	.amdhsa_kernel _ZN12_GLOBAL__N_129calculator_inverse_diagonal_tIdliE23kernel_inverse_diagonalILj1024ELb0EEEviPKiPKd21rocsparse_index_base_PdPKliS7_Pi
		.amdhsa_group_segment_fixed_size 0
		.amdhsa_private_segment_fixed_size 0
		.amdhsa_kernarg_size 64
		.amdhsa_user_sgpr_count 2
		.amdhsa_user_sgpr_dispatch_ptr 0
		.amdhsa_user_sgpr_queue_ptr 0
		.amdhsa_user_sgpr_kernarg_segment_ptr 1
		.amdhsa_user_sgpr_dispatch_id 0
		.amdhsa_user_sgpr_kernarg_preload_length 0
		.amdhsa_user_sgpr_kernarg_preload_offset 0
		.amdhsa_user_sgpr_private_segment_size 0
		.amdhsa_wavefront_size32 1
		.amdhsa_uses_dynamic_stack 0
		.amdhsa_enable_private_segment 0
		.amdhsa_system_sgpr_workgroup_id_x 1
		.amdhsa_system_sgpr_workgroup_id_y 0
		.amdhsa_system_sgpr_workgroup_id_z 0
		.amdhsa_system_sgpr_workgroup_info 0
		.amdhsa_system_vgpr_workitem_id 0
		.amdhsa_next_free_vgpr 12
		.amdhsa_next_free_sgpr 12
		.amdhsa_named_barrier_count 0
		.amdhsa_reserve_vcc 1
		.amdhsa_float_round_mode_32 0
		.amdhsa_float_round_mode_16_64 0
		.amdhsa_float_denorm_mode_32 3
		.amdhsa_float_denorm_mode_16_64 3
		.amdhsa_fp16_overflow 0
		.amdhsa_memory_ordered 1
		.amdhsa_forward_progress 1
		.amdhsa_inst_pref_size 6
		.amdhsa_round_robin_scheduling 0
		.amdhsa_exception_fp_ieee_invalid_op 0
		.amdhsa_exception_fp_denorm_src 0
		.amdhsa_exception_fp_ieee_div_zero 0
		.amdhsa_exception_fp_ieee_overflow 0
		.amdhsa_exception_fp_ieee_underflow 0
		.amdhsa_exception_fp_ieee_inexact 0
		.amdhsa_exception_int_div_zero 0
	.end_amdhsa_kernel
	.section	.text._ZN12_GLOBAL__N_129calculator_inverse_diagonal_tIdliE23kernel_inverse_diagonalILj1024ELb0EEEviPKiPKd21rocsparse_index_base_PdPKliS7_Pi,"axG",@progbits,_ZN12_GLOBAL__N_129calculator_inverse_diagonal_tIdliE23kernel_inverse_diagonalILj1024ELb0EEEviPKiPKd21rocsparse_index_base_PdPKliS7_Pi,comdat
.Lfunc_end14:
	.size	_ZN12_GLOBAL__N_129calculator_inverse_diagonal_tIdliE23kernel_inverse_diagonalILj1024ELb0EEEviPKiPKd21rocsparse_index_base_PdPKliS7_Pi, .Lfunc_end14-_ZN12_GLOBAL__N_129calculator_inverse_diagonal_tIdliE23kernel_inverse_diagonalILj1024ELb0EEEviPKiPKd21rocsparse_index_base_PdPKliS7_Pi
                                        ; -- End function
	.set _ZN12_GLOBAL__N_129calculator_inverse_diagonal_tIdliE23kernel_inverse_diagonalILj1024ELb0EEEviPKiPKd21rocsparse_index_base_PdPKliS7_Pi.num_vgpr, 12
	.set _ZN12_GLOBAL__N_129calculator_inverse_diagonal_tIdliE23kernel_inverse_diagonalILj1024ELb0EEEviPKiPKd21rocsparse_index_base_PdPKliS7_Pi.num_agpr, 0
	.set _ZN12_GLOBAL__N_129calculator_inverse_diagonal_tIdliE23kernel_inverse_diagonalILj1024ELb0EEEviPKiPKd21rocsparse_index_base_PdPKliS7_Pi.numbered_sgpr, 12
	.set _ZN12_GLOBAL__N_129calculator_inverse_diagonal_tIdliE23kernel_inverse_diagonalILj1024ELb0EEEviPKiPKd21rocsparse_index_base_PdPKliS7_Pi.num_named_barrier, 0
	.set _ZN12_GLOBAL__N_129calculator_inverse_diagonal_tIdliE23kernel_inverse_diagonalILj1024ELb0EEEviPKiPKd21rocsparse_index_base_PdPKliS7_Pi.private_seg_size, 0
	.set _ZN12_GLOBAL__N_129calculator_inverse_diagonal_tIdliE23kernel_inverse_diagonalILj1024ELb0EEEviPKiPKd21rocsparse_index_base_PdPKliS7_Pi.uses_vcc, 1
	.set _ZN12_GLOBAL__N_129calculator_inverse_diagonal_tIdliE23kernel_inverse_diagonalILj1024ELb0EEEviPKiPKd21rocsparse_index_base_PdPKliS7_Pi.uses_flat_scratch, 0
	.set _ZN12_GLOBAL__N_129calculator_inverse_diagonal_tIdliE23kernel_inverse_diagonalILj1024ELb0EEEviPKiPKd21rocsparse_index_base_PdPKliS7_Pi.has_dyn_sized_stack, 0
	.set _ZN12_GLOBAL__N_129calculator_inverse_diagonal_tIdliE23kernel_inverse_diagonalILj1024ELb0EEEviPKiPKd21rocsparse_index_base_PdPKliS7_Pi.has_recursion, 0
	.set _ZN12_GLOBAL__N_129calculator_inverse_diagonal_tIdliE23kernel_inverse_diagonalILj1024ELb0EEEviPKiPKd21rocsparse_index_base_PdPKliS7_Pi.has_indirect_call, 0
	.section	.AMDGPU.csdata,"",@progbits
; Kernel info:
; codeLenInByte = 672
; TotalNumSgprs: 14
; NumVgprs: 12
; ScratchSize: 0
; MemoryBound: 0
; FloatMode: 240
; IeeeMode: 1
; LDSByteSize: 0 bytes/workgroup (compile time only)
; SGPRBlocks: 0
; VGPRBlocks: 0
; NumSGPRsForWavesPerEU: 14
; NumVGPRsForWavesPerEU: 12
; NamedBarCnt: 0
; Occupancy: 16
; WaveLimiterHint : 1
; COMPUTE_PGM_RSRC2:SCRATCH_EN: 0
; COMPUTE_PGM_RSRC2:USER_SGPR: 2
; COMPUTE_PGM_RSRC2:TRAP_HANDLER: 0
; COMPUTE_PGM_RSRC2:TGID_X_EN: 1
; COMPUTE_PGM_RSRC2:TGID_Y_EN: 0
; COMPUTE_PGM_RSRC2:TGID_Z_EN: 0
; COMPUTE_PGM_RSRC2:TIDIG_COMP_CNT: 0
	.section	.text._ZN12_GLOBAL__N_129calculator_inverse_diagonal_tIdliE23kernel_inverse_diagonalILj1024ELb1EEEviPKiPKd21rocsparse_index_base_PdPKliS7_Pi,"axG",@progbits,_ZN12_GLOBAL__N_129calculator_inverse_diagonal_tIdliE23kernel_inverse_diagonalILj1024ELb1EEEviPKiPKd21rocsparse_index_base_PdPKliS7_Pi,comdat
	.globl	_ZN12_GLOBAL__N_129calculator_inverse_diagonal_tIdliE23kernel_inverse_diagonalILj1024ELb1EEEviPKiPKd21rocsparse_index_base_PdPKliS7_Pi ; -- Begin function _ZN12_GLOBAL__N_129calculator_inverse_diagonal_tIdliE23kernel_inverse_diagonalILj1024ELb1EEEviPKiPKd21rocsparse_index_base_PdPKliS7_Pi
	.p2align	8
	.type	_ZN12_GLOBAL__N_129calculator_inverse_diagonal_tIdliE23kernel_inverse_diagonalILj1024ELb1EEEviPKiPKd21rocsparse_index_base_PdPKliS7_Pi,@function
_ZN12_GLOBAL__N_129calculator_inverse_diagonal_tIdliE23kernel_inverse_diagonalILj1024ELb1EEEviPKiPKd21rocsparse_index_base_PdPKliS7_Pi: ; @_ZN12_GLOBAL__N_129calculator_inverse_diagonal_tIdliE23kernel_inverse_diagonalILj1024ELb1EEEviPKiPKd21rocsparse_index_base_PdPKliS7_Pi
; %bb.0:
	s_load_b32 s2, s[0:1], 0x0
	s_bfe_u32 s3, ttmp6, 0x4000c
	s_and_b32 s4, ttmp6, 15
	s_add_co_i32 s3, s3, 1
	s_getreg_b32 s5, hwreg(HW_REG_IB_STS2, 6, 4)
	s_mul_i32 s3, ttmp9, s3
	s_delay_alu instid0(SALU_CYCLE_1) | instskip(SKIP_3) | instid1(SALU_CYCLE_1)
	s_add_co_i32 s4, s4, s3
	s_cmp_eq_u32 s5, 0
	s_mov_b32 s5, 0
	s_cselect_b32 s3, ttmp9, s4
	v_lshl_or_b32 v0, s3, 10, v0
	s_wait_kmcnt 0x0
	s_delay_alu instid0(VALU_DEP_1)
	v_cmp_gt_i32_e32 vcc_lo, s2, v0
	s_and_saveexec_b32 s2, vcc_lo
	s_cbranch_execz .LBB15_18
; %bb.1:
	s_clause 0x2
	s_load_b128 s[8:11], s[0:1], 0x28
	s_load_b64 s[2:3], s[0:1], 0x38
	s_load_b32 s7, s[0:1], 0x18
	s_wait_kmcnt 0x0
	global_load_b64 v[2:3], v0, s[8:9] scale_offset
	s_wait_xcnt 0x0
	s_load_b64 s[8:9], s[0:1], 0x8
	s_mov_b32 s4, s11
	s_ashr_i32 s11, s10, 31
	s_wait_loadcnt 0x0
	v_sub_nc_u64_e64 v[2:3], v[2:3], s[4:5]
	s_mov_b32 s4, exec_lo
	s_delay_alu instid0(VALU_DEP_1) | instskip(SKIP_1) | instid1(VALU_DEP_1)
	v_add_nc_u64_e32 v[2:3], s[10:11], v[2:3]
	s_wait_kmcnt 0x0
	v_lshl_add_u64 v[4:5], v[2:3], 2, s[8:9]
	global_load_b32 v1, v[4:5], off
	s_wait_loadcnt 0x0
	v_subrev_nc_u32_e32 v4, s7, v1
	v_ashrrev_i32_e32 v1, 31, v0
	s_delay_alu instid0(VALU_DEP_2)
	v_cmpx_ne_u32_e64 v4, v0
	s_xor_b32 s4, exec_lo, s4
	s_cbranch_execz .LBB15_7
; %bb.2:
	v_add_nc_u32_e32 v2, s7, v0
	s_mov_b32 s6, exec_lo
	s_brev_b32 s5, -2
.LBB15_3:                               ; =>This Inner Loop Header: Depth=1
	s_ctz_i32_b32 s8, s6
	s_delay_alu instid0(VALU_DEP_1) | instid1(SALU_CYCLE_1)
	v_readlane_b32 s9, v2, s8
	s_lshl_b32 s8, 1, s8
	s_delay_alu instid0(SALU_CYCLE_1)
	s_and_not1_b32 s6, s6, s8
	s_min_i32 s5, s5, s9
	s_cmp_lg_u32 s6, 0
	s_cbranch_scc1 .LBB15_3
; %bb.4:
	v_mbcnt_lo_u32_b32 v2, exec_lo, 0
	s_mov_b32 s6, exec_lo
	s_delay_alu instid0(VALU_DEP_1)
	v_cmpx_eq_u32_e32 0, v2
	s_xor_b32 s6, exec_lo, s6
	s_cbranch_execz .LBB15_6
; %bb.5:
	v_dual_mov_b32 v2, 0 :: v_dual_mov_b32 v3, s5
	global_atomic_min_i32 v2, v3, s[2:3] scope:SCOPE_DEV
.LBB15_6:
	s_wait_xcnt 0x0
	s_or_b32 exec_lo, exec_lo, s6
                                        ; implicit-def: $vgpr2_vgpr3
.LBB15_7:
	s_or_saveexec_b32 s6, s4
	s_load_b64 s[4:5], s[0:1], 0x20
	v_mov_b64_e32 v[4:5], 1.0
	s_xor_b32 exec_lo, exec_lo, s6
	s_cbranch_execz .LBB15_17
; %bb.8:
	s_wait_xcnt 0x0
	s_load_b64 s[0:1], s[0:1], 0x10
	s_wait_kmcnt 0x0
	v_lshl_add_u64 v[2:3], v[2:3], 3, s[0:1]
	s_mov_b32 s0, exec_lo
	global_load_b64 v[2:3], v[2:3], off
	s_wait_loadcnt 0x0
	v_cmpx_eq_f64_e32 0, v[2:3]
	s_xor_b32 s0, exec_lo, s0
	s_cbranch_execz .LBB15_14
; %bb.9:
	v_add_nc_u32_e32 v2, s7, v0
	s_mov_b32 s8, exec_lo
	s_brev_b32 s1, -2
.LBB15_10:                              ; =>This Inner Loop Header: Depth=1
	s_ctz_i32_b32 s7, s8
	s_delay_alu instid0(VALU_DEP_1) | instid1(SALU_CYCLE_1)
	v_readlane_b32 s9, v2, s7
	s_lshl_b32 s7, 1, s7
	s_delay_alu instid0(SALU_CYCLE_1)
	s_and_not1_b32 s8, s8, s7
	s_min_i32 s1, s1, s9
	s_cmp_lg_u32 s8, 0
	s_cbranch_scc1 .LBB15_10
; %bb.11:
	v_mbcnt_lo_u32_b32 v2, exec_lo, 0
	s_mov_b32 s7, exec_lo
	s_delay_alu instid0(VALU_DEP_1)
	v_cmpx_eq_u32_e32 0, v2
	s_xor_b32 s7, exec_lo, s7
	s_cbranch_execz .LBB15_13
; %bb.12:
	v_dual_mov_b32 v2, 0 :: v_dual_mov_b32 v3, s1
	global_atomic_min_i32 v2, v3, s[2:3] scope:SCOPE_DEV
.LBB15_13:
	s_wait_xcnt 0x0
	s_or_b32 exec_lo, exec_lo, s7
                                        ; implicit-def: $vgpr2_vgpr3
.LBB15_14:
	s_or_saveexec_b32 s0, s0
	v_mov_b64_e32 v[4:5], 1.0
	s_xor_b32 exec_lo, exec_lo, s0
	s_cbranch_execz .LBB15_16
; %bb.15:
	v_div_scale_f64 v[4:5], null, v[2:3], v[2:3], 1.0
	s_delay_alu instid0(VALU_DEP_1) | instskip(SKIP_1) | instid1(TRANS32_DEP_1)
	v_rcp_f64_e32 v[6:7], v[4:5]
	v_nop
	v_fma_f64 v[8:9], -v[4:5], v[6:7], 1.0
	s_delay_alu instid0(VALU_DEP_1) | instskip(NEXT) | instid1(VALU_DEP_1)
	v_fmac_f64_e32 v[6:7], v[6:7], v[8:9]
	v_fma_f64 v[8:9], -v[4:5], v[6:7], 1.0
	s_delay_alu instid0(VALU_DEP_1) | instskip(SKIP_1) | instid1(VALU_DEP_1)
	v_fmac_f64_e32 v[6:7], v[6:7], v[8:9]
	v_div_scale_f64 v[8:9], vcc_lo, 1.0, v[2:3], 1.0
	v_mul_f64_e32 v[10:11], v[8:9], v[6:7]
	s_delay_alu instid0(VALU_DEP_1) | instskip(NEXT) | instid1(VALU_DEP_1)
	v_fma_f64 v[4:5], -v[4:5], v[10:11], v[8:9]
	v_div_fmas_f64 v[4:5], v[4:5], v[6:7], v[10:11]
	s_delay_alu instid0(VALU_DEP_1)
	v_div_fixup_f64 v[4:5], v[4:5], v[2:3], 1.0
.LBB15_16:
	s_or_b32 exec_lo, exec_lo, s0
.LBB15_17:
	s_delay_alu instid0(SALU_CYCLE_1)
	s_or_b32 exec_lo, exec_lo, s6
	s_wait_kmcnt 0x0
	v_lshl_add_u64 v[0:1], v[0:1], 3, s[4:5]
	global_store_b64 v[0:1], v[4:5], off
.LBB15_18:
	s_endpgm
	.section	.rodata,"a",@progbits
	.p2align	6, 0x0
	.amdhsa_kernel _ZN12_GLOBAL__N_129calculator_inverse_diagonal_tIdliE23kernel_inverse_diagonalILj1024ELb1EEEviPKiPKd21rocsparse_index_base_PdPKliS7_Pi
		.amdhsa_group_segment_fixed_size 0
		.amdhsa_private_segment_fixed_size 0
		.amdhsa_kernarg_size 64
		.amdhsa_user_sgpr_count 2
		.amdhsa_user_sgpr_dispatch_ptr 0
		.amdhsa_user_sgpr_queue_ptr 0
		.amdhsa_user_sgpr_kernarg_segment_ptr 1
		.amdhsa_user_sgpr_dispatch_id 0
		.amdhsa_user_sgpr_kernarg_preload_length 0
		.amdhsa_user_sgpr_kernarg_preload_offset 0
		.amdhsa_user_sgpr_private_segment_size 0
		.amdhsa_wavefront_size32 1
		.amdhsa_uses_dynamic_stack 0
		.amdhsa_enable_private_segment 0
		.amdhsa_system_sgpr_workgroup_id_x 1
		.amdhsa_system_sgpr_workgroup_id_y 0
		.amdhsa_system_sgpr_workgroup_id_z 0
		.amdhsa_system_sgpr_workgroup_info 0
		.amdhsa_system_vgpr_workitem_id 0
		.amdhsa_next_free_vgpr 12
		.amdhsa_next_free_sgpr 12
		.amdhsa_named_barrier_count 0
		.amdhsa_reserve_vcc 1
		.amdhsa_float_round_mode_32 0
		.amdhsa_float_round_mode_16_64 0
		.amdhsa_float_denorm_mode_32 3
		.amdhsa_float_denorm_mode_16_64 3
		.amdhsa_fp16_overflow 0
		.amdhsa_memory_ordered 1
		.amdhsa_forward_progress 1
		.amdhsa_inst_pref_size 6
		.amdhsa_round_robin_scheduling 0
		.amdhsa_exception_fp_ieee_invalid_op 0
		.amdhsa_exception_fp_denorm_src 0
		.amdhsa_exception_fp_ieee_div_zero 0
		.amdhsa_exception_fp_ieee_overflow 0
		.amdhsa_exception_fp_ieee_underflow 0
		.amdhsa_exception_fp_ieee_inexact 0
		.amdhsa_exception_int_div_zero 0
	.end_amdhsa_kernel
	.section	.text._ZN12_GLOBAL__N_129calculator_inverse_diagonal_tIdliE23kernel_inverse_diagonalILj1024ELb1EEEviPKiPKd21rocsparse_index_base_PdPKliS7_Pi,"axG",@progbits,_ZN12_GLOBAL__N_129calculator_inverse_diagonal_tIdliE23kernel_inverse_diagonalILj1024ELb1EEEviPKiPKd21rocsparse_index_base_PdPKliS7_Pi,comdat
.Lfunc_end15:
	.size	_ZN12_GLOBAL__N_129calculator_inverse_diagonal_tIdliE23kernel_inverse_diagonalILj1024ELb1EEEviPKiPKd21rocsparse_index_base_PdPKliS7_Pi, .Lfunc_end15-_ZN12_GLOBAL__N_129calculator_inverse_diagonal_tIdliE23kernel_inverse_diagonalILj1024ELb1EEEviPKiPKd21rocsparse_index_base_PdPKliS7_Pi
                                        ; -- End function
	.set _ZN12_GLOBAL__N_129calculator_inverse_diagonal_tIdliE23kernel_inverse_diagonalILj1024ELb1EEEviPKiPKd21rocsparse_index_base_PdPKliS7_Pi.num_vgpr, 12
	.set _ZN12_GLOBAL__N_129calculator_inverse_diagonal_tIdliE23kernel_inverse_diagonalILj1024ELb1EEEviPKiPKd21rocsparse_index_base_PdPKliS7_Pi.num_agpr, 0
	.set _ZN12_GLOBAL__N_129calculator_inverse_diagonal_tIdliE23kernel_inverse_diagonalILj1024ELb1EEEviPKiPKd21rocsparse_index_base_PdPKliS7_Pi.numbered_sgpr, 12
	.set _ZN12_GLOBAL__N_129calculator_inverse_diagonal_tIdliE23kernel_inverse_diagonalILj1024ELb1EEEviPKiPKd21rocsparse_index_base_PdPKliS7_Pi.num_named_barrier, 0
	.set _ZN12_GLOBAL__N_129calculator_inverse_diagonal_tIdliE23kernel_inverse_diagonalILj1024ELb1EEEviPKiPKd21rocsparse_index_base_PdPKliS7_Pi.private_seg_size, 0
	.set _ZN12_GLOBAL__N_129calculator_inverse_diagonal_tIdliE23kernel_inverse_diagonalILj1024ELb1EEEviPKiPKd21rocsparse_index_base_PdPKliS7_Pi.uses_vcc, 1
	.set _ZN12_GLOBAL__N_129calculator_inverse_diagonal_tIdliE23kernel_inverse_diagonalILj1024ELb1EEEviPKiPKd21rocsparse_index_base_PdPKliS7_Pi.uses_flat_scratch, 0
	.set _ZN12_GLOBAL__N_129calculator_inverse_diagonal_tIdliE23kernel_inverse_diagonalILj1024ELb1EEEviPKiPKd21rocsparse_index_base_PdPKliS7_Pi.has_dyn_sized_stack, 0
	.set _ZN12_GLOBAL__N_129calculator_inverse_diagonal_tIdliE23kernel_inverse_diagonalILj1024ELb1EEEviPKiPKd21rocsparse_index_base_PdPKliS7_Pi.has_recursion, 0
	.set _ZN12_GLOBAL__N_129calculator_inverse_diagonal_tIdliE23kernel_inverse_diagonalILj1024ELb1EEEviPKiPKd21rocsparse_index_base_PdPKliS7_Pi.has_indirect_call, 0
	.section	.AMDGPU.csdata,"",@progbits
; Kernel info:
; codeLenInByte = 672
; TotalNumSgprs: 14
; NumVgprs: 12
; ScratchSize: 0
; MemoryBound: 0
; FloatMode: 240
; IeeeMode: 1
; LDSByteSize: 0 bytes/workgroup (compile time only)
; SGPRBlocks: 0
; VGPRBlocks: 0
; NumSGPRsForWavesPerEU: 14
; NumVGPRsForWavesPerEU: 12
; NamedBarCnt: 0
; Occupancy: 16
; WaveLimiterHint : 1
; COMPUTE_PGM_RSRC2:SCRATCH_EN: 0
; COMPUTE_PGM_RSRC2:USER_SGPR: 2
; COMPUTE_PGM_RSRC2:TRAP_HANDLER: 0
; COMPUTE_PGM_RSRC2:TGID_X_EN: 1
; COMPUTE_PGM_RSRC2:TGID_Y_EN: 0
; COMPUTE_PGM_RSRC2:TGID_Z_EN: 0
; COMPUTE_PGM_RSRC2:TIDIG_COMP_CNT: 0
	.section	.text._ZN12_GLOBAL__N_129calculator_inverse_diagonal_tI21rocsparse_complex_numIfEliE23kernel_inverse_diagonalILj1024ELb0EEEviPKiPKS2_21rocsparse_index_base_PS2_PKliS9_Pi,"axG",@progbits,_ZN12_GLOBAL__N_129calculator_inverse_diagonal_tI21rocsparse_complex_numIfEliE23kernel_inverse_diagonalILj1024ELb0EEEviPKiPKS2_21rocsparse_index_base_PS2_PKliS9_Pi,comdat
	.globl	_ZN12_GLOBAL__N_129calculator_inverse_diagonal_tI21rocsparse_complex_numIfEliE23kernel_inverse_diagonalILj1024ELb0EEEviPKiPKS2_21rocsparse_index_base_PS2_PKliS9_Pi ; -- Begin function _ZN12_GLOBAL__N_129calculator_inverse_diagonal_tI21rocsparse_complex_numIfEliE23kernel_inverse_diagonalILj1024ELb0EEEviPKiPKS2_21rocsparse_index_base_PS2_PKliS9_Pi
	.p2align	8
	.type	_ZN12_GLOBAL__N_129calculator_inverse_diagonal_tI21rocsparse_complex_numIfEliE23kernel_inverse_diagonalILj1024ELb0EEEviPKiPKS2_21rocsparse_index_base_PS2_PKliS9_Pi,@function
_ZN12_GLOBAL__N_129calculator_inverse_diagonal_tI21rocsparse_complex_numIfEliE23kernel_inverse_diagonalILj1024ELb0EEEviPKiPKS2_21rocsparse_index_base_PS2_PKliS9_Pi: ; @_ZN12_GLOBAL__N_129calculator_inverse_diagonal_tI21rocsparse_complex_numIfEliE23kernel_inverse_diagonalILj1024ELb0EEEviPKiPKS2_21rocsparse_index_base_PS2_PKliS9_Pi
; %bb.0:
	s_load_b32 s2, s[0:1], 0x0
	s_bfe_u32 s3, ttmp6, 0x4000c
	s_and_b32 s4, ttmp6, 15
	s_add_co_i32 s3, s3, 1
	s_getreg_b32 s5, hwreg(HW_REG_IB_STS2, 6, 4)
	s_mul_i32 s3, ttmp9, s3
	s_delay_alu instid0(SALU_CYCLE_1) | instskip(SKIP_2) | instid1(SALU_CYCLE_1)
	s_add_co_i32 s4, s4, s3
	s_cmp_eq_u32 s5, 0
	s_cselect_b32 s3, ttmp9, s4
	v_lshl_or_b32 v0, s3, 10, v0
	s_mov_b32 s3, 0
	s_wait_kmcnt 0x0
	s_delay_alu instid0(VALU_DEP_1)
	v_cmp_gt_i32_e32 vcc_lo, s2, v0
	s_and_saveexec_b32 s2, vcc_lo
	s_cbranch_execz .LBB16_16
; %bb.1:
	s_load_b256 s[4:11], s[0:1], 0x20
	s_wait_kmcnt 0x0
	global_load_b64 v[2:3], v0, s[6:7] scale_offset
	s_wait_xcnt 0x0
	s_load_b64 s[6:7], s[0:1], 0x8
	s_mov_b32 s2, s9
	s_ashr_i32 s9, s8, 31
	s_wait_loadcnt 0x0
	v_sub_nc_u64_e64 v[2:3], v[2:3], s[2:3]
	s_load_b32 s2, s[0:1], 0x18
	s_mov_b32 s3, exec_lo
	s_delay_alu instid0(VALU_DEP_1) | instskip(SKIP_1) | instid1(VALU_DEP_1)
	v_add_nc_u64_e32 v[2:3], s[8:9], v[2:3]
	s_wait_kmcnt 0x0
	v_lshl_add_u64 v[4:5], v[2:3], 2, s[6:7]
	global_load_b32 v1, v[4:5], off
	s_wait_loadcnt 0x0
	v_subrev_nc_u32_e32 v4, s2, v1
	v_ashrrev_i32_e32 v1, 31, v0
	s_delay_alu instid0(VALU_DEP_2)
	v_cmpx_ne_u32_e64 v4, v0
	s_xor_b32 s3, exec_lo, s3
	s_cbranch_execz .LBB16_7
; %bb.2:
	v_add_nc_u32_e32 v2, s2, v0
	s_mov_b32 s7, exec_lo
	s_brev_b32 s6, -2
.LBB16_3:                               ; =>This Inner Loop Header: Depth=1
	s_ctz_i32_b32 s8, s7
	s_delay_alu instid0(VALU_DEP_1) | instid1(SALU_CYCLE_1)
	v_readlane_b32 s9, v2, s8
	s_lshl_b32 s8, 1, s8
	s_delay_alu instid0(SALU_CYCLE_1)
	s_and_not1_b32 s7, s7, s8
	s_min_i32 s6, s6, s9
	s_cmp_lg_u32 s7, 0
	s_cbranch_scc1 .LBB16_3
; %bb.4:
	v_mbcnt_lo_u32_b32 v2, exec_lo, 0
	s_mov_b32 s7, exec_lo
	s_delay_alu instid0(VALU_DEP_1)
	v_cmpx_eq_u32_e32 0, v2
	s_xor_b32 s7, exec_lo, s7
	s_cbranch_execz .LBB16_6
; %bb.5:
	v_dual_mov_b32 v2, 0 :: v_dual_mov_b32 v3, s6
	global_atomic_min_i32 v2, v3, s[10:11] scope:SCOPE_DEV
.LBB16_6:
	s_wait_xcnt 0x0
	s_or_b32 exec_lo, exec_lo, s7
	v_mov_b64_e32 v[2:3], 0x3f800000
	v_lshl_add_u64 v[0:1], v[0:1], 3, s[4:5]
	global_store_b64 v[0:1], v[2:3], off
                                        ; implicit-def: $vgpr0_vgpr1
                                        ; implicit-def: $vgpr2_vgpr3
.LBB16_7:
	s_wait_xcnt 0x0
	s_and_not1_saveexec_b32 s3, s3
	s_cbranch_execz .LBB16_16
; %bb.8:
	s_load_b64 s[0:1], s[0:1], 0x10
	s_wait_kmcnt 0x0
	v_lshl_add_u64 v[2:3], v[2:3], 3, s[0:1]
	global_load_b64 v[2:3], v[2:3], off
	s_wait_loadcnt 0x0
	v_cmp_eq_f32_e32 vcc_lo, 0, v2
	v_cmp_eq_f32_e64 s0, 0, v3
	s_and_b32 s0, vcc_lo, s0
	s_wait_xcnt 0x0
	s_and_saveexec_b32 s1, s0
	s_delay_alu instid0(SALU_CYCLE_1)
	s_xor_b32 s0, exec_lo, s1
	s_cbranch_execz .LBB16_14
; %bb.9:
	v_add_nc_u32_e32 v2, s2, v0
	s_mov_b32 s3, exec_lo
	s_brev_b32 s1, -2
.LBB16_10:                              ; =>This Inner Loop Header: Depth=1
	s_ctz_i32_b32 s2, s3
	s_delay_alu instid0(VALU_DEP_1) | instid1(SALU_CYCLE_1)
	v_readlane_b32 s6, v2, s2
	s_lshl_b32 s2, 1, s2
	s_delay_alu instid0(SALU_CYCLE_1)
	s_and_not1_b32 s3, s3, s2
	s_min_i32 s1, s1, s6
	s_cmp_lg_u32 s3, 0
	s_cbranch_scc1 .LBB16_10
; %bb.11:
	v_mbcnt_lo_u32_b32 v2, exec_lo, 0
	s_mov_b32 s2, exec_lo
	s_delay_alu instid0(VALU_DEP_1)
	v_cmpx_eq_u32_e32 0, v2
	s_xor_b32 s2, exec_lo, s2
	s_cbranch_execz .LBB16_13
; %bb.12:
	v_dual_mov_b32 v2, 0 :: v_dual_mov_b32 v3, s1
	global_atomic_min_i32 v2, v3, s[10:11] scope:SCOPE_DEV
.LBB16_13:
	s_wait_xcnt 0x0
	s_or_b32 exec_lo, exec_lo, s2
	v_mov_b64_e32 v[2:3], 0x3f800000
	v_lshl_add_u64 v[0:1], v[0:1], 3, s[4:5]
	global_store_b64 v[0:1], v[2:3], off
                                        ; implicit-def: $vgpr2_vgpr3
                                        ; implicit-def: $vgpr0_vgpr1
.LBB16_14:
	s_wait_xcnt 0x0
	s_and_not1_saveexec_b32 s0, s0
	s_cbranch_execz .LBB16_16
; %bb.15:
	v_mul_f32_e32 v5, v3, v3
	v_lshl_add_u64 v[0:1], v[0:1], 3, s[4:5]
	s_delay_alu instid0(VALU_DEP_2) | instskip(NEXT) | instid1(VALU_DEP_1)
	v_fmac_f32_e32 v5, v2, v2
	v_div_scale_f32 v4, null, v5, v5, 1.0
	v_div_scale_f32 v8, vcc_lo, 1.0, v5, 1.0
	s_delay_alu instid0(VALU_DEP_2) | instskip(SKIP_1) | instid1(TRANS32_DEP_1)
	v_rcp_f32_e32 v6, v4
	v_nop
	v_fma_f32 v7, -v4, v6, 1.0
	s_delay_alu instid0(VALU_DEP_1) | instskip(NEXT) | instid1(VALU_DEP_1)
	v_fmac_f32_e32 v6, v7, v6
	v_mul_f32_e32 v7, v8, v6
	s_delay_alu instid0(VALU_DEP_1) | instskip(NEXT) | instid1(VALU_DEP_1)
	v_fma_f32 v9, -v4, v7, v8
	v_fmac_f32_e32 v7, v9, v6
	s_delay_alu instid0(VALU_DEP_1) | instskip(NEXT) | instid1(VALU_DEP_1)
	v_fma_f32 v4, -v4, v7, v8
	v_div_fmas_f32 v6, v4, v6, v7
	v_fma_f32 v4, 0, v3, v2
	s_delay_alu instid0(VALU_DEP_2) | instskip(SKIP_1) | instid1(VALU_DEP_1)
	v_div_fixup_f32 v6, v6, v5, 1.0
	v_fma_f32 v5, v2, 0, -v3
	v_pk_mul_f32 v[2:3], v[4:5], v[6:7] op_sel_hi:[1,0]
	global_store_b64 v[0:1], v[2:3], off
.LBB16_16:
	s_endpgm
	.section	.rodata,"a",@progbits
	.p2align	6, 0x0
	.amdhsa_kernel _ZN12_GLOBAL__N_129calculator_inverse_diagonal_tI21rocsparse_complex_numIfEliE23kernel_inverse_diagonalILj1024ELb0EEEviPKiPKS2_21rocsparse_index_base_PS2_PKliS9_Pi
		.amdhsa_group_segment_fixed_size 0
		.amdhsa_private_segment_fixed_size 0
		.amdhsa_kernarg_size 64
		.amdhsa_user_sgpr_count 2
		.amdhsa_user_sgpr_dispatch_ptr 0
		.amdhsa_user_sgpr_queue_ptr 0
		.amdhsa_user_sgpr_kernarg_segment_ptr 1
		.amdhsa_user_sgpr_dispatch_id 0
		.amdhsa_user_sgpr_kernarg_preload_length 0
		.amdhsa_user_sgpr_kernarg_preload_offset 0
		.amdhsa_user_sgpr_private_segment_size 0
		.amdhsa_wavefront_size32 1
		.amdhsa_uses_dynamic_stack 0
		.amdhsa_enable_private_segment 0
		.amdhsa_system_sgpr_workgroup_id_x 1
		.amdhsa_system_sgpr_workgroup_id_y 0
		.amdhsa_system_sgpr_workgroup_id_z 0
		.amdhsa_system_sgpr_workgroup_info 0
		.amdhsa_system_vgpr_workitem_id 0
		.amdhsa_next_free_vgpr 10
		.amdhsa_next_free_sgpr 12
		.amdhsa_named_barrier_count 0
		.amdhsa_reserve_vcc 1
		.amdhsa_float_round_mode_32 0
		.amdhsa_float_round_mode_16_64 0
		.amdhsa_float_denorm_mode_32 3
		.amdhsa_float_denorm_mode_16_64 3
		.amdhsa_fp16_overflow 0
		.amdhsa_memory_ordered 1
		.amdhsa_forward_progress 1
		.amdhsa_inst_pref_size 6
		.amdhsa_round_robin_scheduling 0
		.amdhsa_exception_fp_ieee_invalid_op 0
		.amdhsa_exception_fp_denorm_src 0
		.amdhsa_exception_fp_ieee_div_zero 0
		.amdhsa_exception_fp_ieee_overflow 0
		.amdhsa_exception_fp_ieee_underflow 0
		.amdhsa_exception_fp_ieee_inexact 0
		.amdhsa_exception_int_div_zero 0
	.end_amdhsa_kernel
	.section	.text._ZN12_GLOBAL__N_129calculator_inverse_diagonal_tI21rocsparse_complex_numIfEliE23kernel_inverse_diagonalILj1024ELb0EEEviPKiPKS2_21rocsparse_index_base_PS2_PKliS9_Pi,"axG",@progbits,_ZN12_GLOBAL__N_129calculator_inverse_diagonal_tI21rocsparse_complex_numIfEliE23kernel_inverse_diagonalILj1024ELb0EEEviPKiPKS2_21rocsparse_index_base_PS2_PKliS9_Pi,comdat
.Lfunc_end16:
	.size	_ZN12_GLOBAL__N_129calculator_inverse_diagonal_tI21rocsparse_complex_numIfEliE23kernel_inverse_diagonalILj1024ELb0EEEviPKiPKS2_21rocsparse_index_base_PS2_PKliS9_Pi, .Lfunc_end16-_ZN12_GLOBAL__N_129calculator_inverse_diagonal_tI21rocsparse_complex_numIfEliE23kernel_inverse_diagonalILj1024ELb0EEEviPKiPKS2_21rocsparse_index_base_PS2_PKliS9_Pi
                                        ; -- End function
	.set _ZN12_GLOBAL__N_129calculator_inverse_diagonal_tI21rocsparse_complex_numIfEliE23kernel_inverse_diagonalILj1024ELb0EEEviPKiPKS2_21rocsparse_index_base_PS2_PKliS9_Pi.num_vgpr, 10
	.set _ZN12_GLOBAL__N_129calculator_inverse_diagonal_tI21rocsparse_complex_numIfEliE23kernel_inverse_diagonalILj1024ELb0EEEviPKiPKS2_21rocsparse_index_base_PS2_PKliS9_Pi.num_agpr, 0
	.set _ZN12_GLOBAL__N_129calculator_inverse_diagonal_tI21rocsparse_complex_numIfEliE23kernel_inverse_diagonalILj1024ELb0EEEviPKiPKS2_21rocsparse_index_base_PS2_PKliS9_Pi.numbered_sgpr, 12
	.set _ZN12_GLOBAL__N_129calculator_inverse_diagonal_tI21rocsparse_complex_numIfEliE23kernel_inverse_diagonalILj1024ELb0EEEviPKiPKS2_21rocsparse_index_base_PS2_PKliS9_Pi.num_named_barrier, 0
	.set _ZN12_GLOBAL__N_129calculator_inverse_diagonal_tI21rocsparse_complex_numIfEliE23kernel_inverse_diagonalILj1024ELb0EEEviPKiPKS2_21rocsparse_index_base_PS2_PKliS9_Pi.private_seg_size, 0
	.set _ZN12_GLOBAL__N_129calculator_inverse_diagonal_tI21rocsparse_complex_numIfEliE23kernel_inverse_diagonalILj1024ELb0EEEviPKiPKS2_21rocsparse_index_base_PS2_PKliS9_Pi.uses_vcc, 1
	.set _ZN12_GLOBAL__N_129calculator_inverse_diagonal_tI21rocsparse_complex_numIfEliE23kernel_inverse_diagonalILj1024ELb0EEEviPKiPKS2_21rocsparse_index_base_PS2_PKliS9_Pi.uses_flat_scratch, 0
	.set _ZN12_GLOBAL__N_129calculator_inverse_diagonal_tI21rocsparse_complex_numIfEliE23kernel_inverse_diagonalILj1024ELb0EEEviPKiPKS2_21rocsparse_index_base_PS2_PKliS9_Pi.has_dyn_sized_stack, 0
	.set _ZN12_GLOBAL__N_129calculator_inverse_diagonal_tI21rocsparse_complex_numIfEliE23kernel_inverse_diagonalILj1024ELb0EEEviPKiPKS2_21rocsparse_index_base_PS2_PKliS9_Pi.has_recursion, 0
	.set _ZN12_GLOBAL__N_129calculator_inverse_diagonal_tI21rocsparse_complex_numIfEliE23kernel_inverse_diagonalILj1024ELb0EEEviPKiPKS2_21rocsparse_index_base_PS2_PKliS9_Pi.has_indirect_call, 0
	.section	.AMDGPU.csdata,"",@progbits
; Kernel info:
; codeLenInByte = 736
; TotalNumSgprs: 14
; NumVgprs: 10
; ScratchSize: 0
; MemoryBound: 0
; FloatMode: 240
; IeeeMode: 1
; LDSByteSize: 0 bytes/workgroup (compile time only)
; SGPRBlocks: 0
; VGPRBlocks: 0
; NumSGPRsForWavesPerEU: 14
; NumVGPRsForWavesPerEU: 10
; NamedBarCnt: 0
; Occupancy: 16
; WaveLimiterHint : 1
; COMPUTE_PGM_RSRC2:SCRATCH_EN: 0
; COMPUTE_PGM_RSRC2:USER_SGPR: 2
; COMPUTE_PGM_RSRC2:TRAP_HANDLER: 0
; COMPUTE_PGM_RSRC2:TGID_X_EN: 1
; COMPUTE_PGM_RSRC2:TGID_Y_EN: 0
; COMPUTE_PGM_RSRC2:TGID_Z_EN: 0
; COMPUTE_PGM_RSRC2:TIDIG_COMP_CNT: 0
	.section	.text._ZN12_GLOBAL__N_129calculator_inverse_diagonal_tI21rocsparse_complex_numIfEliE23kernel_inverse_diagonalILj1024ELb1EEEviPKiPKS2_21rocsparse_index_base_PS2_PKliS9_Pi,"axG",@progbits,_ZN12_GLOBAL__N_129calculator_inverse_diagonal_tI21rocsparse_complex_numIfEliE23kernel_inverse_diagonalILj1024ELb1EEEviPKiPKS2_21rocsparse_index_base_PS2_PKliS9_Pi,comdat
	.globl	_ZN12_GLOBAL__N_129calculator_inverse_diagonal_tI21rocsparse_complex_numIfEliE23kernel_inverse_diagonalILj1024ELb1EEEviPKiPKS2_21rocsparse_index_base_PS2_PKliS9_Pi ; -- Begin function _ZN12_GLOBAL__N_129calculator_inverse_diagonal_tI21rocsparse_complex_numIfEliE23kernel_inverse_diagonalILj1024ELb1EEEviPKiPKS2_21rocsparse_index_base_PS2_PKliS9_Pi
	.p2align	8
	.type	_ZN12_GLOBAL__N_129calculator_inverse_diagonal_tI21rocsparse_complex_numIfEliE23kernel_inverse_diagonalILj1024ELb1EEEviPKiPKS2_21rocsparse_index_base_PS2_PKliS9_Pi,@function
_ZN12_GLOBAL__N_129calculator_inverse_diagonal_tI21rocsparse_complex_numIfEliE23kernel_inverse_diagonalILj1024ELb1EEEviPKiPKS2_21rocsparse_index_base_PS2_PKliS9_Pi: ; @_ZN12_GLOBAL__N_129calculator_inverse_diagonal_tI21rocsparse_complex_numIfEliE23kernel_inverse_diagonalILj1024ELb1EEEviPKiPKS2_21rocsparse_index_base_PS2_PKliS9_Pi
; %bb.0:
	s_load_b32 s2, s[0:1], 0x0
	s_bfe_u32 s3, ttmp6, 0x4000c
	s_and_b32 s4, ttmp6, 15
	s_add_co_i32 s3, s3, 1
	s_getreg_b32 s5, hwreg(HW_REG_IB_STS2, 6, 4)
	s_mul_i32 s3, ttmp9, s3
	s_delay_alu instid0(SALU_CYCLE_1) | instskip(SKIP_2) | instid1(SALU_CYCLE_1)
	s_add_co_i32 s4, s4, s3
	s_cmp_eq_u32 s5, 0
	s_cselect_b32 s3, ttmp9, s4
	v_lshl_or_b32 v0, s3, 10, v0
	s_mov_b32 s3, 0
	s_wait_kmcnt 0x0
	s_delay_alu instid0(VALU_DEP_1)
	v_cmp_gt_i32_e32 vcc_lo, s2, v0
	s_and_saveexec_b32 s2, vcc_lo
	s_cbranch_execz .LBB17_16
; %bb.1:
	s_load_b256 s[4:11], s[0:1], 0x20
	s_wait_kmcnt 0x0
	global_load_b64 v[2:3], v0, s[6:7] scale_offset
	s_wait_xcnt 0x0
	s_load_b64 s[6:7], s[0:1], 0x8
	s_mov_b32 s2, s9
	s_ashr_i32 s9, s8, 31
	s_wait_loadcnt 0x0
	v_sub_nc_u64_e64 v[2:3], v[2:3], s[2:3]
	s_load_b32 s2, s[0:1], 0x18
	s_mov_b32 s3, exec_lo
	s_delay_alu instid0(VALU_DEP_1) | instskip(SKIP_1) | instid1(VALU_DEP_1)
	v_add_nc_u64_e32 v[2:3], s[8:9], v[2:3]
	s_wait_kmcnt 0x0
	v_lshl_add_u64 v[4:5], v[2:3], 2, s[6:7]
	global_load_b32 v1, v[4:5], off
	s_wait_loadcnt 0x0
	v_subrev_nc_u32_e32 v4, s2, v1
	v_ashrrev_i32_e32 v1, 31, v0
	s_delay_alu instid0(VALU_DEP_2)
	v_cmpx_ne_u32_e64 v4, v0
	s_xor_b32 s3, exec_lo, s3
	s_cbranch_execz .LBB17_7
; %bb.2:
	v_add_nc_u32_e32 v2, s2, v0
	s_mov_b32 s7, exec_lo
	s_brev_b32 s6, -2
.LBB17_3:                               ; =>This Inner Loop Header: Depth=1
	s_ctz_i32_b32 s8, s7
	s_delay_alu instid0(VALU_DEP_1) | instid1(SALU_CYCLE_1)
	v_readlane_b32 s9, v2, s8
	s_lshl_b32 s8, 1, s8
	s_delay_alu instid0(SALU_CYCLE_1)
	s_and_not1_b32 s7, s7, s8
	s_min_i32 s6, s6, s9
	s_cmp_lg_u32 s7, 0
	s_cbranch_scc1 .LBB17_3
; %bb.4:
	v_mbcnt_lo_u32_b32 v2, exec_lo, 0
	s_mov_b32 s7, exec_lo
	s_delay_alu instid0(VALU_DEP_1)
	v_cmpx_eq_u32_e32 0, v2
	s_xor_b32 s7, exec_lo, s7
	s_cbranch_execz .LBB17_6
; %bb.5:
	v_dual_mov_b32 v2, 0 :: v_dual_mov_b32 v3, s6
	global_atomic_min_i32 v2, v3, s[10:11] scope:SCOPE_DEV
.LBB17_6:
	s_wait_xcnt 0x0
	s_or_b32 exec_lo, exec_lo, s7
	v_mov_b64_e32 v[2:3], 0x3f800000
	v_lshl_add_u64 v[0:1], v[0:1], 3, s[4:5]
	global_store_b64 v[0:1], v[2:3], off
                                        ; implicit-def: $vgpr0_vgpr1
                                        ; implicit-def: $vgpr2_vgpr3
.LBB17_7:
	s_wait_xcnt 0x0
	s_and_not1_saveexec_b32 s3, s3
	s_cbranch_execz .LBB17_16
; %bb.8:
	s_load_b64 s[0:1], s[0:1], 0x10
	s_wait_kmcnt 0x0
	v_lshl_add_u64 v[2:3], v[2:3], 3, s[0:1]
	global_load_b64 v[2:3], v[2:3], off
	s_wait_loadcnt 0x0
	v_cmp_eq_f32_e32 vcc_lo, 0, v2
	v_cmp_eq_f32_e64 s0, 0, v3
	s_and_b32 s0, vcc_lo, s0
	s_wait_xcnt 0x0
	s_and_saveexec_b32 s1, s0
	s_delay_alu instid0(SALU_CYCLE_1)
	s_xor_b32 s0, exec_lo, s1
	s_cbranch_execz .LBB17_14
; %bb.9:
	v_add_nc_u32_e32 v2, s2, v0
	s_mov_b32 s3, exec_lo
	s_brev_b32 s1, -2
.LBB17_10:                              ; =>This Inner Loop Header: Depth=1
	s_ctz_i32_b32 s2, s3
	s_delay_alu instid0(VALU_DEP_1) | instid1(SALU_CYCLE_1)
	v_readlane_b32 s6, v2, s2
	s_lshl_b32 s2, 1, s2
	s_delay_alu instid0(SALU_CYCLE_1)
	s_and_not1_b32 s3, s3, s2
	s_min_i32 s1, s1, s6
	s_cmp_lg_u32 s3, 0
	s_cbranch_scc1 .LBB17_10
; %bb.11:
	v_mbcnt_lo_u32_b32 v2, exec_lo, 0
	s_mov_b32 s2, exec_lo
	s_delay_alu instid0(VALU_DEP_1)
	v_cmpx_eq_u32_e32 0, v2
	s_xor_b32 s2, exec_lo, s2
	s_cbranch_execz .LBB17_13
; %bb.12:
	v_dual_mov_b32 v2, 0 :: v_dual_mov_b32 v3, s1
	global_atomic_min_i32 v2, v3, s[10:11] scope:SCOPE_DEV
.LBB17_13:
	s_wait_xcnt 0x0
	s_or_b32 exec_lo, exec_lo, s2
	v_mov_b64_e32 v[2:3], 0x3f800000
	v_lshl_add_u64 v[0:1], v[0:1], 3, s[4:5]
	global_store_b64 v[0:1], v[2:3], off
                                        ; implicit-def: $vgpr2_vgpr3
                                        ; implicit-def: $vgpr0_vgpr1
.LBB17_14:
	s_wait_xcnt 0x0
	s_and_not1_saveexec_b32 s0, s0
	s_cbranch_execz .LBB17_16
; %bb.15:
	v_mul_f32_e32 v5, v3, v3
	v_lshl_add_u64 v[0:1], v[0:1], 3, s[4:5]
	s_delay_alu instid0(VALU_DEP_2) | instskip(NEXT) | instid1(VALU_DEP_1)
	v_fmac_f32_e32 v5, v2, v2
	v_div_scale_f32 v4, null, v5, v5, 1.0
	v_div_scale_f32 v8, vcc_lo, 1.0, v5, 1.0
	s_delay_alu instid0(VALU_DEP_2) | instskip(SKIP_1) | instid1(TRANS32_DEP_1)
	v_rcp_f32_e32 v6, v4
	v_nop
	v_fma_f32 v7, -v4, v6, 1.0
	s_delay_alu instid0(VALU_DEP_1) | instskip(NEXT) | instid1(VALU_DEP_1)
	v_fmac_f32_e32 v6, v7, v6
	v_mul_f32_e32 v7, v8, v6
	s_delay_alu instid0(VALU_DEP_1) | instskip(NEXT) | instid1(VALU_DEP_1)
	v_fma_f32 v9, -v4, v7, v8
	v_fmac_f32_e32 v7, v9, v6
	s_delay_alu instid0(VALU_DEP_1) | instskip(SKIP_1) | instid1(VALU_DEP_2)
	v_fma_f32 v8, -v4, v7, v8
	v_dual_fmamk_f32 v4, v3, 0x80000000, v2 :: v_dual_fmac_f32 v3, 0, v2
	v_div_fmas_f32 v6, v8, v6, v7
	s_delay_alu instid0(VALU_DEP_1) | instskip(NEXT) | instid1(VALU_DEP_3)
	v_div_fixup_f32 v2, v6, v5, 1.0
	v_mov_b32_e32 v5, v3
	s_delay_alu instid0(VALU_DEP_1)
	v_pk_mul_f32 v[2:3], v[4:5], v[2:3] op_sel_hi:[1,0]
	global_store_b64 v[0:1], v[2:3], off
.LBB17_16:
	s_endpgm
	.section	.rodata,"a",@progbits
	.p2align	6, 0x0
	.amdhsa_kernel _ZN12_GLOBAL__N_129calculator_inverse_diagonal_tI21rocsparse_complex_numIfEliE23kernel_inverse_diagonalILj1024ELb1EEEviPKiPKS2_21rocsparse_index_base_PS2_PKliS9_Pi
		.amdhsa_group_segment_fixed_size 0
		.amdhsa_private_segment_fixed_size 0
		.amdhsa_kernarg_size 64
		.amdhsa_user_sgpr_count 2
		.amdhsa_user_sgpr_dispatch_ptr 0
		.amdhsa_user_sgpr_queue_ptr 0
		.amdhsa_user_sgpr_kernarg_segment_ptr 1
		.amdhsa_user_sgpr_dispatch_id 0
		.amdhsa_user_sgpr_kernarg_preload_length 0
		.amdhsa_user_sgpr_kernarg_preload_offset 0
		.amdhsa_user_sgpr_private_segment_size 0
		.amdhsa_wavefront_size32 1
		.amdhsa_uses_dynamic_stack 0
		.amdhsa_enable_private_segment 0
		.amdhsa_system_sgpr_workgroup_id_x 1
		.amdhsa_system_sgpr_workgroup_id_y 0
		.amdhsa_system_sgpr_workgroup_id_z 0
		.amdhsa_system_sgpr_workgroup_info 0
		.amdhsa_system_vgpr_workitem_id 0
		.amdhsa_next_free_vgpr 10
		.amdhsa_next_free_sgpr 12
		.amdhsa_named_barrier_count 0
		.amdhsa_reserve_vcc 1
		.amdhsa_float_round_mode_32 0
		.amdhsa_float_round_mode_16_64 0
		.amdhsa_float_denorm_mode_32 3
		.amdhsa_float_denorm_mode_16_64 3
		.amdhsa_fp16_overflow 0
		.amdhsa_memory_ordered 1
		.amdhsa_forward_progress 1
		.amdhsa_inst_pref_size 6
		.amdhsa_round_robin_scheduling 0
		.amdhsa_exception_fp_ieee_invalid_op 0
		.amdhsa_exception_fp_denorm_src 0
		.amdhsa_exception_fp_ieee_div_zero 0
		.amdhsa_exception_fp_ieee_overflow 0
		.amdhsa_exception_fp_ieee_underflow 0
		.amdhsa_exception_fp_ieee_inexact 0
		.amdhsa_exception_int_div_zero 0
	.end_amdhsa_kernel
	.section	.text._ZN12_GLOBAL__N_129calculator_inverse_diagonal_tI21rocsparse_complex_numIfEliE23kernel_inverse_diagonalILj1024ELb1EEEviPKiPKS2_21rocsparse_index_base_PS2_PKliS9_Pi,"axG",@progbits,_ZN12_GLOBAL__N_129calculator_inverse_diagonal_tI21rocsparse_complex_numIfEliE23kernel_inverse_diagonalILj1024ELb1EEEviPKiPKS2_21rocsparse_index_base_PS2_PKliS9_Pi,comdat
.Lfunc_end17:
	.size	_ZN12_GLOBAL__N_129calculator_inverse_diagonal_tI21rocsparse_complex_numIfEliE23kernel_inverse_diagonalILj1024ELb1EEEviPKiPKS2_21rocsparse_index_base_PS2_PKliS9_Pi, .Lfunc_end17-_ZN12_GLOBAL__N_129calculator_inverse_diagonal_tI21rocsparse_complex_numIfEliE23kernel_inverse_diagonalILj1024ELb1EEEviPKiPKS2_21rocsparse_index_base_PS2_PKliS9_Pi
                                        ; -- End function
	.set _ZN12_GLOBAL__N_129calculator_inverse_diagonal_tI21rocsparse_complex_numIfEliE23kernel_inverse_diagonalILj1024ELb1EEEviPKiPKS2_21rocsparse_index_base_PS2_PKliS9_Pi.num_vgpr, 10
	.set _ZN12_GLOBAL__N_129calculator_inverse_diagonal_tI21rocsparse_complex_numIfEliE23kernel_inverse_diagonalILj1024ELb1EEEviPKiPKS2_21rocsparse_index_base_PS2_PKliS9_Pi.num_agpr, 0
	.set _ZN12_GLOBAL__N_129calculator_inverse_diagonal_tI21rocsparse_complex_numIfEliE23kernel_inverse_diagonalILj1024ELb1EEEviPKiPKS2_21rocsparse_index_base_PS2_PKliS9_Pi.numbered_sgpr, 12
	.set _ZN12_GLOBAL__N_129calculator_inverse_diagonal_tI21rocsparse_complex_numIfEliE23kernel_inverse_diagonalILj1024ELb1EEEviPKiPKS2_21rocsparse_index_base_PS2_PKliS9_Pi.num_named_barrier, 0
	.set _ZN12_GLOBAL__N_129calculator_inverse_diagonal_tI21rocsparse_complex_numIfEliE23kernel_inverse_diagonalILj1024ELb1EEEviPKiPKS2_21rocsparse_index_base_PS2_PKliS9_Pi.private_seg_size, 0
	.set _ZN12_GLOBAL__N_129calculator_inverse_diagonal_tI21rocsparse_complex_numIfEliE23kernel_inverse_diagonalILj1024ELb1EEEviPKiPKS2_21rocsparse_index_base_PS2_PKliS9_Pi.uses_vcc, 1
	.set _ZN12_GLOBAL__N_129calculator_inverse_diagonal_tI21rocsparse_complex_numIfEliE23kernel_inverse_diagonalILj1024ELb1EEEviPKiPKS2_21rocsparse_index_base_PS2_PKliS9_Pi.uses_flat_scratch, 0
	.set _ZN12_GLOBAL__N_129calculator_inverse_diagonal_tI21rocsparse_complex_numIfEliE23kernel_inverse_diagonalILj1024ELb1EEEviPKiPKS2_21rocsparse_index_base_PS2_PKliS9_Pi.has_dyn_sized_stack, 0
	.set _ZN12_GLOBAL__N_129calculator_inverse_diagonal_tI21rocsparse_complex_numIfEliE23kernel_inverse_diagonalILj1024ELb1EEEviPKiPKS2_21rocsparse_index_base_PS2_PKliS9_Pi.has_recursion, 0
	.set _ZN12_GLOBAL__N_129calculator_inverse_diagonal_tI21rocsparse_complex_numIfEliE23kernel_inverse_diagonalILj1024ELb1EEEviPKiPKS2_21rocsparse_index_base_PS2_PKliS9_Pi.has_indirect_call, 0
	.section	.AMDGPU.csdata,"",@progbits
; Kernel info:
; codeLenInByte = 740
; TotalNumSgprs: 14
; NumVgprs: 10
; ScratchSize: 0
; MemoryBound: 0
; FloatMode: 240
; IeeeMode: 1
; LDSByteSize: 0 bytes/workgroup (compile time only)
; SGPRBlocks: 0
; VGPRBlocks: 0
; NumSGPRsForWavesPerEU: 14
; NumVGPRsForWavesPerEU: 10
; NamedBarCnt: 0
; Occupancy: 16
; WaveLimiterHint : 1
; COMPUTE_PGM_RSRC2:SCRATCH_EN: 0
; COMPUTE_PGM_RSRC2:USER_SGPR: 2
; COMPUTE_PGM_RSRC2:TRAP_HANDLER: 0
; COMPUTE_PGM_RSRC2:TGID_X_EN: 1
; COMPUTE_PGM_RSRC2:TGID_Y_EN: 0
; COMPUTE_PGM_RSRC2:TGID_Z_EN: 0
; COMPUTE_PGM_RSRC2:TIDIG_COMP_CNT: 0
	.section	.text._ZN12_GLOBAL__N_129calculator_inverse_diagonal_tI21rocsparse_complex_numIdEliE23kernel_inverse_diagonalILj1024ELb0EEEviPKiPKS2_21rocsparse_index_base_PS2_PKliS9_Pi,"axG",@progbits,_ZN12_GLOBAL__N_129calculator_inverse_diagonal_tI21rocsparse_complex_numIdEliE23kernel_inverse_diagonalILj1024ELb0EEEviPKiPKS2_21rocsparse_index_base_PS2_PKliS9_Pi,comdat
	.globl	_ZN12_GLOBAL__N_129calculator_inverse_diagonal_tI21rocsparse_complex_numIdEliE23kernel_inverse_diagonalILj1024ELb0EEEviPKiPKS2_21rocsparse_index_base_PS2_PKliS9_Pi ; -- Begin function _ZN12_GLOBAL__N_129calculator_inverse_diagonal_tI21rocsparse_complex_numIdEliE23kernel_inverse_diagonalILj1024ELb0EEEviPKiPKS2_21rocsparse_index_base_PS2_PKliS9_Pi
	.p2align	8
	.type	_ZN12_GLOBAL__N_129calculator_inverse_diagonal_tI21rocsparse_complex_numIdEliE23kernel_inverse_diagonalILj1024ELb0EEEviPKiPKS2_21rocsparse_index_base_PS2_PKliS9_Pi,@function
_ZN12_GLOBAL__N_129calculator_inverse_diagonal_tI21rocsparse_complex_numIdEliE23kernel_inverse_diagonalILj1024ELb0EEEviPKiPKS2_21rocsparse_index_base_PS2_PKliS9_Pi: ; @_ZN12_GLOBAL__N_129calculator_inverse_diagonal_tI21rocsparse_complex_numIdEliE23kernel_inverse_diagonalILj1024ELb0EEEviPKiPKS2_21rocsparse_index_base_PS2_PKliS9_Pi
; %bb.0:
	s_load_b32 s2, s[0:1], 0x0
	s_bfe_u32 s3, ttmp6, 0x4000c
	s_and_b32 s4, ttmp6, 15
	s_add_co_i32 s3, s3, 1
	s_getreg_b32 s5, hwreg(HW_REG_IB_STS2, 6, 4)
	s_mul_i32 s3, ttmp9, s3
	s_delay_alu instid0(SALU_CYCLE_1) | instskip(SKIP_3) | instid1(SALU_CYCLE_1)
	s_add_co_i32 s4, s4, s3
	s_cmp_eq_u32 s5, 0
	s_mov_b32 s5, 0
	s_cselect_b32 s3, ttmp9, s4
	v_lshl_or_b32 v8, s3, 10, v0
	s_wait_kmcnt 0x0
	s_delay_alu instid0(VALU_DEP_1)
	v_cmp_gt_i32_e32 vcc_lo, s2, v8
	s_and_saveexec_b32 s2, vcc_lo
	s_cbranch_execz .LBB18_18
; %bb.1:
	s_clause 0x1
	s_load_b128 s[8:11], s[0:1], 0x28
	s_load_b64 s[2:3], s[0:1], 0x38
	v_ashrrev_i32_e32 v9, 31, v8
	s_load_b32 s7, s[0:1], 0x18
	s_wait_kmcnt 0x0
	global_load_b64 v[0:1], v8, s[8:9] scale_offset
	s_wait_xcnt 0x0
	s_load_b64 s[8:9], s[0:1], 0x8
	s_mov_b32 s4, s11
	s_ashr_i32 s11, s10, 31
	s_wait_loadcnt 0x0
	v_sub_nc_u64_e64 v[0:1], v[0:1], s[4:5]
	s_mov_b32 s4, exec_lo
	s_delay_alu instid0(VALU_DEP_1) | instskip(SKIP_1) | instid1(VALU_DEP_1)
	v_add_nc_u64_e32 v[0:1], s[10:11], v[0:1]
	s_wait_kmcnt 0x0
	v_lshl_add_u64 v[2:3], v[0:1], 2, s[8:9]
	global_load_b32 v2, v[2:3], off
	s_wait_loadcnt 0x0
	v_subrev_nc_u32_e32 v2, s7, v2
	s_delay_alu instid0(VALU_DEP_1)
	v_cmpx_ne_u32_e64 v2, v8
	s_xor_b32 s4, exec_lo, s4
	s_cbranch_execz .LBB18_7
; %bb.2:
	v_add_nc_u32_e32 v0, s7, v8
	s_mov_b32 s6, exec_lo
	s_brev_b32 s5, -2
.LBB18_3:                               ; =>This Inner Loop Header: Depth=1
	s_ctz_i32_b32 s8, s6
	s_delay_alu instid0(VALU_DEP_1) | instid1(SALU_CYCLE_1)
	v_readlane_b32 s9, v0, s8
	s_lshl_b32 s8, 1, s8
	s_delay_alu instid0(SALU_CYCLE_1)
	s_and_not1_b32 s6, s6, s8
	s_min_i32 s5, s5, s9
	s_cmp_lg_u32 s6, 0
	s_cbranch_scc1 .LBB18_3
; %bb.4:
	v_mbcnt_lo_u32_b32 v0, exec_lo, 0
	s_mov_b32 s6, exec_lo
	s_delay_alu instid0(VALU_DEP_1)
	v_cmpx_eq_u32_e32 0, v0
	s_xor_b32 s6, exec_lo, s6
	s_cbranch_execz .LBB18_6
; %bb.5:
	v_dual_mov_b32 v0, 0 :: v_dual_mov_b32 v1, s5
	global_atomic_min_i32 v0, v1, s[2:3] scope:SCOPE_DEV
.LBB18_6:
	s_wait_xcnt 0x0
	s_or_b32 exec_lo, exec_lo, s6
                                        ; implicit-def: $vgpr0_vgpr1
.LBB18_7:
	s_or_saveexec_b32 s6, s4
	s_load_b64 s[4:5], s[0:1], 0x20
	v_mov_b64_e32 v[6:7], 0
	v_mov_b64_e32 v[4:5], 1.0
	s_xor_b32 exec_lo, exec_lo, s6
	s_cbranch_execz .LBB18_17
; %bb.8:
	s_wait_xcnt 0x0
	s_load_b64 s[0:1], s[0:1], 0x10
	s_wait_kmcnt 0x0
	v_lshl_add_u64 v[0:1], v[0:1], 4, s[0:1]
	global_load_b128 v[0:3], v[0:1], off
	s_wait_loadcnt 0x0
	v_cmp_eq_f64_e32 vcc_lo, 0, v[0:1]
	v_cmp_eq_f64_e64 s0, 0, v[2:3]
	s_and_b32 s0, vcc_lo, s0
	s_wait_xcnt 0x0
	s_and_saveexec_b32 s1, s0
	s_delay_alu instid0(SALU_CYCLE_1)
	s_xor_b32 s0, exec_lo, s1
	s_cbranch_execz .LBB18_14
; %bb.9:
	v_add_nc_u32_e32 v0, s7, v8
	s_mov_b32 s8, exec_lo
	s_brev_b32 s1, -2
.LBB18_10:                              ; =>This Inner Loop Header: Depth=1
	s_ctz_i32_b32 s7, s8
	s_delay_alu instid0(VALU_DEP_1) | instid1(SALU_CYCLE_1)
	v_readlane_b32 s9, v0, s7
	s_lshl_b32 s7, 1, s7
	s_delay_alu instid0(SALU_CYCLE_1)
	s_and_not1_b32 s8, s8, s7
	s_min_i32 s1, s1, s9
	s_cmp_lg_u32 s8, 0
	s_cbranch_scc1 .LBB18_10
; %bb.11:
	v_mbcnt_lo_u32_b32 v0, exec_lo, 0
	s_mov_b32 s7, exec_lo
	s_delay_alu instid0(VALU_DEP_1)
	v_cmpx_eq_u32_e32 0, v0
	s_xor_b32 s7, exec_lo, s7
	s_cbranch_execz .LBB18_13
; %bb.12:
	v_dual_mov_b32 v0, 0 :: v_dual_mov_b32 v1, s1
	global_atomic_min_i32 v0, v1, s[2:3] scope:SCOPE_DEV
.LBB18_13:
	s_wait_xcnt 0x0
	s_or_b32 exec_lo, exec_lo, s7
                                        ; implicit-def: $vgpr2_vgpr3
.LBB18_14:
	s_or_saveexec_b32 s0, s0
	v_mov_b64_e32 v[4:5], 1.0
	v_mov_b64_e32 v[6:7], 0
	s_xor_b32 exec_lo, exec_lo, s0
	s_cbranch_execz .LBB18_16
; %bb.15:
	v_mul_f64_e32 v[4:5], v[2:3], v[2:3]
	s_delay_alu instid0(VALU_DEP_1) | instskip(NEXT) | instid1(VALU_DEP_1)
	v_fmac_f64_e32 v[4:5], v[0:1], v[0:1]
	v_div_scale_f64 v[6:7], null, v[4:5], v[4:5], 1.0
	v_div_scale_f64 v[14:15], vcc_lo, 1.0, v[4:5], 1.0
	s_delay_alu instid0(VALU_DEP_2) | instskip(SKIP_1) | instid1(TRANS32_DEP_1)
	v_rcp_f64_e32 v[10:11], v[6:7]
	v_nop
	v_fma_f64 v[12:13], -v[6:7], v[10:11], 1.0
	s_delay_alu instid0(VALU_DEP_1) | instskip(NEXT) | instid1(VALU_DEP_1)
	v_fmac_f64_e32 v[10:11], v[10:11], v[12:13]
	v_fma_f64 v[12:13], -v[6:7], v[10:11], 1.0
	s_delay_alu instid0(VALU_DEP_1) | instskip(NEXT) | instid1(VALU_DEP_1)
	v_fmac_f64_e32 v[10:11], v[10:11], v[12:13]
	v_mul_f64_e32 v[12:13], v[14:15], v[10:11]
	s_delay_alu instid0(VALU_DEP_1) | instskip(NEXT) | instid1(VALU_DEP_1)
	v_fma_f64 v[6:7], -v[6:7], v[12:13], v[14:15]
	v_div_fmas_f64 v[6:7], v[6:7], v[10:11], v[12:13]
	v_fma_f64 v[10:11], 0, v[2:3], v[0:1]
	v_fma_f64 v[0:1], v[0:1], 0, -v[2:3]
	s_delay_alu instid0(VALU_DEP_3) | instskip(NEXT) | instid1(VALU_DEP_1)
	v_div_fixup_f64 v[6:7], v[6:7], v[4:5], 1.0
	v_mul_f64_e32 v[4:5], v[10:11], v[6:7]
	s_delay_alu instid0(VALU_DEP_3)
	v_mul_f64_e32 v[6:7], v[0:1], v[6:7]
.LBB18_16:
	s_or_b32 exec_lo, exec_lo, s0
.LBB18_17:
	s_delay_alu instid0(SALU_CYCLE_1)
	s_or_b32 exec_lo, exec_lo, s6
	s_wait_kmcnt 0x0
	v_lshl_add_u64 v[0:1], v[8:9], 4, s[4:5]
	global_store_b128 v[0:1], v[4:7], off
.LBB18_18:
	s_endpgm
	.section	.rodata,"a",@progbits
	.p2align	6, 0x0
	.amdhsa_kernel _ZN12_GLOBAL__N_129calculator_inverse_diagonal_tI21rocsparse_complex_numIdEliE23kernel_inverse_diagonalILj1024ELb0EEEviPKiPKS2_21rocsparse_index_base_PS2_PKliS9_Pi
		.amdhsa_group_segment_fixed_size 0
		.amdhsa_private_segment_fixed_size 0
		.amdhsa_kernarg_size 64
		.amdhsa_user_sgpr_count 2
		.amdhsa_user_sgpr_dispatch_ptr 0
		.amdhsa_user_sgpr_queue_ptr 0
		.amdhsa_user_sgpr_kernarg_segment_ptr 1
		.amdhsa_user_sgpr_dispatch_id 0
		.amdhsa_user_sgpr_kernarg_preload_length 0
		.amdhsa_user_sgpr_kernarg_preload_offset 0
		.amdhsa_user_sgpr_private_segment_size 0
		.amdhsa_wavefront_size32 1
		.amdhsa_uses_dynamic_stack 0
		.amdhsa_enable_private_segment 0
		.amdhsa_system_sgpr_workgroup_id_x 1
		.amdhsa_system_sgpr_workgroup_id_y 0
		.amdhsa_system_sgpr_workgroup_id_z 0
		.amdhsa_system_sgpr_workgroup_info 0
		.amdhsa_system_vgpr_workitem_id 0
		.amdhsa_next_free_vgpr 16
		.amdhsa_next_free_sgpr 12
		.amdhsa_named_barrier_count 0
		.amdhsa_reserve_vcc 1
		.amdhsa_float_round_mode_32 0
		.amdhsa_float_round_mode_16_64 0
		.amdhsa_float_denorm_mode_32 3
		.amdhsa_float_denorm_mode_16_64 3
		.amdhsa_fp16_overflow 0
		.amdhsa_memory_ordered 1
		.amdhsa_forward_progress 1
		.amdhsa_inst_pref_size 6
		.amdhsa_round_robin_scheduling 0
		.amdhsa_exception_fp_ieee_invalid_op 0
		.amdhsa_exception_fp_denorm_src 0
		.amdhsa_exception_fp_ieee_div_zero 0
		.amdhsa_exception_fp_ieee_overflow 0
		.amdhsa_exception_fp_ieee_underflow 0
		.amdhsa_exception_fp_ieee_inexact 0
		.amdhsa_exception_int_div_zero 0
	.end_amdhsa_kernel
	.section	.text._ZN12_GLOBAL__N_129calculator_inverse_diagonal_tI21rocsparse_complex_numIdEliE23kernel_inverse_diagonalILj1024ELb0EEEviPKiPKS2_21rocsparse_index_base_PS2_PKliS9_Pi,"axG",@progbits,_ZN12_GLOBAL__N_129calculator_inverse_diagonal_tI21rocsparse_complex_numIdEliE23kernel_inverse_diagonalILj1024ELb0EEEviPKiPKS2_21rocsparse_index_base_PS2_PKliS9_Pi,comdat
.Lfunc_end18:
	.size	_ZN12_GLOBAL__N_129calculator_inverse_diagonal_tI21rocsparse_complex_numIdEliE23kernel_inverse_diagonalILj1024ELb0EEEviPKiPKS2_21rocsparse_index_base_PS2_PKliS9_Pi, .Lfunc_end18-_ZN12_GLOBAL__N_129calculator_inverse_diagonal_tI21rocsparse_complex_numIdEliE23kernel_inverse_diagonalILj1024ELb0EEEviPKiPKS2_21rocsparse_index_base_PS2_PKliS9_Pi
                                        ; -- End function
	.set _ZN12_GLOBAL__N_129calculator_inverse_diagonal_tI21rocsparse_complex_numIdEliE23kernel_inverse_diagonalILj1024ELb0EEEviPKiPKS2_21rocsparse_index_base_PS2_PKliS9_Pi.num_vgpr, 16
	.set _ZN12_GLOBAL__N_129calculator_inverse_diagonal_tI21rocsparse_complex_numIdEliE23kernel_inverse_diagonalILj1024ELb0EEEviPKiPKS2_21rocsparse_index_base_PS2_PKliS9_Pi.num_agpr, 0
	.set _ZN12_GLOBAL__N_129calculator_inverse_diagonal_tI21rocsparse_complex_numIdEliE23kernel_inverse_diagonalILj1024ELb0EEEviPKiPKS2_21rocsparse_index_base_PS2_PKliS9_Pi.numbered_sgpr, 12
	.set _ZN12_GLOBAL__N_129calculator_inverse_diagonal_tI21rocsparse_complex_numIdEliE23kernel_inverse_diagonalILj1024ELb0EEEviPKiPKS2_21rocsparse_index_base_PS2_PKliS9_Pi.num_named_barrier, 0
	.set _ZN12_GLOBAL__N_129calculator_inverse_diagonal_tI21rocsparse_complex_numIdEliE23kernel_inverse_diagonalILj1024ELb0EEEviPKiPKS2_21rocsparse_index_base_PS2_PKliS9_Pi.private_seg_size, 0
	.set _ZN12_GLOBAL__N_129calculator_inverse_diagonal_tI21rocsparse_complex_numIdEliE23kernel_inverse_diagonalILj1024ELb0EEEviPKiPKS2_21rocsparse_index_base_PS2_PKliS9_Pi.uses_vcc, 1
	.set _ZN12_GLOBAL__N_129calculator_inverse_diagonal_tI21rocsparse_complex_numIdEliE23kernel_inverse_diagonalILj1024ELb0EEEviPKiPKS2_21rocsparse_index_base_PS2_PKliS9_Pi.uses_flat_scratch, 0
	.set _ZN12_GLOBAL__N_129calculator_inverse_diagonal_tI21rocsparse_complex_numIdEliE23kernel_inverse_diagonalILj1024ELb0EEEviPKiPKS2_21rocsparse_index_base_PS2_PKliS9_Pi.has_dyn_sized_stack, 0
	.set _ZN12_GLOBAL__N_129calculator_inverse_diagonal_tI21rocsparse_complex_numIdEliE23kernel_inverse_diagonalILj1024ELb0EEEviPKiPKS2_21rocsparse_index_base_PS2_PKliS9_Pi.has_recursion, 0
	.set _ZN12_GLOBAL__N_129calculator_inverse_diagonal_tI21rocsparse_complex_numIdEliE23kernel_inverse_diagonalILj1024ELb0EEEviPKiPKS2_21rocsparse_index_base_PS2_PKliS9_Pi.has_indirect_call, 0
	.section	.AMDGPU.csdata,"",@progbits
; Kernel info:
; codeLenInByte = 740
; TotalNumSgprs: 14
; NumVgprs: 16
; ScratchSize: 0
; MemoryBound: 0
; FloatMode: 240
; IeeeMode: 1
; LDSByteSize: 0 bytes/workgroup (compile time only)
; SGPRBlocks: 0
; VGPRBlocks: 0
; NumSGPRsForWavesPerEU: 14
; NumVGPRsForWavesPerEU: 16
; NamedBarCnt: 0
; Occupancy: 16
; WaveLimiterHint : 1
; COMPUTE_PGM_RSRC2:SCRATCH_EN: 0
; COMPUTE_PGM_RSRC2:USER_SGPR: 2
; COMPUTE_PGM_RSRC2:TRAP_HANDLER: 0
; COMPUTE_PGM_RSRC2:TGID_X_EN: 1
; COMPUTE_PGM_RSRC2:TGID_Y_EN: 0
; COMPUTE_PGM_RSRC2:TGID_Z_EN: 0
; COMPUTE_PGM_RSRC2:TIDIG_COMP_CNT: 0
	.section	.text._ZN12_GLOBAL__N_129calculator_inverse_diagonal_tI21rocsparse_complex_numIdEliE23kernel_inverse_diagonalILj1024ELb1EEEviPKiPKS2_21rocsparse_index_base_PS2_PKliS9_Pi,"axG",@progbits,_ZN12_GLOBAL__N_129calculator_inverse_diagonal_tI21rocsparse_complex_numIdEliE23kernel_inverse_diagonalILj1024ELb1EEEviPKiPKS2_21rocsparse_index_base_PS2_PKliS9_Pi,comdat
	.globl	_ZN12_GLOBAL__N_129calculator_inverse_diagonal_tI21rocsparse_complex_numIdEliE23kernel_inverse_diagonalILj1024ELb1EEEviPKiPKS2_21rocsparse_index_base_PS2_PKliS9_Pi ; -- Begin function _ZN12_GLOBAL__N_129calculator_inverse_diagonal_tI21rocsparse_complex_numIdEliE23kernel_inverse_diagonalILj1024ELb1EEEviPKiPKS2_21rocsparse_index_base_PS2_PKliS9_Pi
	.p2align	8
	.type	_ZN12_GLOBAL__N_129calculator_inverse_diagonal_tI21rocsparse_complex_numIdEliE23kernel_inverse_diagonalILj1024ELb1EEEviPKiPKS2_21rocsparse_index_base_PS2_PKliS9_Pi,@function
_ZN12_GLOBAL__N_129calculator_inverse_diagonal_tI21rocsparse_complex_numIdEliE23kernel_inverse_diagonalILj1024ELb1EEEviPKiPKS2_21rocsparse_index_base_PS2_PKliS9_Pi: ; @_ZN12_GLOBAL__N_129calculator_inverse_diagonal_tI21rocsparse_complex_numIdEliE23kernel_inverse_diagonalILj1024ELb1EEEviPKiPKS2_21rocsparse_index_base_PS2_PKliS9_Pi
; %bb.0:
	s_load_b32 s2, s[0:1], 0x0
	s_bfe_u32 s3, ttmp6, 0x4000c
	s_and_b32 s4, ttmp6, 15
	s_add_co_i32 s3, s3, 1
	s_getreg_b32 s5, hwreg(HW_REG_IB_STS2, 6, 4)
	s_mul_i32 s3, ttmp9, s3
	s_delay_alu instid0(SALU_CYCLE_1) | instskip(SKIP_3) | instid1(SALU_CYCLE_1)
	s_add_co_i32 s4, s4, s3
	s_cmp_eq_u32 s5, 0
	s_mov_b32 s5, 0
	s_cselect_b32 s3, ttmp9, s4
	v_lshl_or_b32 v8, s3, 10, v0
	s_wait_kmcnt 0x0
	s_delay_alu instid0(VALU_DEP_1)
	v_cmp_gt_i32_e32 vcc_lo, s2, v8
	s_and_saveexec_b32 s2, vcc_lo
	s_cbranch_execz .LBB19_18
; %bb.1:
	s_clause 0x1
	s_load_b128 s[8:11], s[0:1], 0x28
	s_load_b64 s[2:3], s[0:1], 0x38
	v_ashrrev_i32_e32 v9, 31, v8
	s_load_b32 s7, s[0:1], 0x18
	s_wait_kmcnt 0x0
	global_load_b64 v[0:1], v8, s[8:9] scale_offset
	s_wait_xcnt 0x0
	s_load_b64 s[8:9], s[0:1], 0x8
	s_mov_b32 s4, s11
	s_ashr_i32 s11, s10, 31
	s_wait_loadcnt 0x0
	v_sub_nc_u64_e64 v[0:1], v[0:1], s[4:5]
	s_mov_b32 s4, exec_lo
	s_delay_alu instid0(VALU_DEP_1) | instskip(SKIP_1) | instid1(VALU_DEP_1)
	v_add_nc_u64_e32 v[0:1], s[10:11], v[0:1]
	s_wait_kmcnt 0x0
	v_lshl_add_u64 v[2:3], v[0:1], 2, s[8:9]
	global_load_b32 v2, v[2:3], off
	s_wait_loadcnt 0x0
	v_subrev_nc_u32_e32 v2, s7, v2
	s_delay_alu instid0(VALU_DEP_1)
	v_cmpx_ne_u32_e64 v2, v8
	s_xor_b32 s4, exec_lo, s4
	s_cbranch_execz .LBB19_7
; %bb.2:
	v_add_nc_u32_e32 v0, s7, v8
	s_mov_b32 s6, exec_lo
	s_brev_b32 s5, -2
.LBB19_3:                               ; =>This Inner Loop Header: Depth=1
	s_ctz_i32_b32 s8, s6
	s_delay_alu instid0(VALU_DEP_1) | instid1(SALU_CYCLE_1)
	v_readlane_b32 s9, v0, s8
	s_lshl_b32 s8, 1, s8
	s_delay_alu instid0(SALU_CYCLE_1)
	s_and_not1_b32 s6, s6, s8
	s_min_i32 s5, s5, s9
	s_cmp_lg_u32 s6, 0
	s_cbranch_scc1 .LBB19_3
; %bb.4:
	v_mbcnt_lo_u32_b32 v0, exec_lo, 0
	s_mov_b32 s6, exec_lo
	s_delay_alu instid0(VALU_DEP_1)
	v_cmpx_eq_u32_e32 0, v0
	s_xor_b32 s6, exec_lo, s6
	s_cbranch_execz .LBB19_6
; %bb.5:
	v_dual_mov_b32 v0, 0 :: v_dual_mov_b32 v1, s5
	global_atomic_min_i32 v0, v1, s[2:3] scope:SCOPE_DEV
.LBB19_6:
	s_wait_xcnt 0x0
	s_or_b32 exec_lo, exec_lo, s6
                                        ; implicit-def: $vgpr0_vgpr1
.LBB19_7:
	s_or_saveexec_b32 s6, s4
	s_load_b64 s[4:5], s[0:1], 0x20
	v_mov_b64_e32 v[6:7], 0
	v_mov_b64_e32 v[4:5], 1.0
	s_xor_b32 exec_lo, exec_lo, s6
	s_cbranch_execz .LBB19_17
; %bb.8:
	s_wait_xcnt 0x0
	s_load_b64 s[0:1], s[0:1], 0x10
	s_wait_kmcnt 0x0
	v_lshl_add_u64 v[0:1], v[0:1], 4, s[0:1]
	global_load_b128 v[0:3], v[0:1], off
	s_wait_loadcnt 0x0
	v_cmp_eq_f64_e32 vcc_lo, 0, v[0:1]
	v_cmp_eq_f64_e64 s0, 0, v[2:3]
	s_and_b32 s0, vcc_lo, s0
	s_wait_xcnt 0x0
	s_and_saveexec_b32 s1, s0
	s_delay_alu instid0(SALU_CYCLE_1)
	s_xor_b32 s0, exec_lo, s1
	s_cbranch_execz .LBB19_14
; %bb.9:
	v_add_nc_u32_e32 v0, s7, v8
	s_mov_b32 s8, exec_lo
	s_brev_b32 s1, -2
.LBB19_10:                              ; =>This Inner Loop Header: Depth=1
	s_ctz_i32_b32 s7, s8
	s_delay_alu instid0(VALU_DEP_1) | instid1(SALU_CYCLE_1)
	v_readlane_b32 s9, v0, s7
	s_lshl_b32 s7, 1, s7
	s_delay_alu instid0(SALU_CYCLE_1)
	s_and_not1_b32 s8, s8, s7
	s_min_i32 s1, s1, s9
	s_cmp_lg_u32 s8, 0
	s_cbranch_scc1 .LBB19_10
; %bb.11:
	v_mbcnt_lo_u32_b32 v0, exec_lo, 0
	s_mov_b32 s7, exec_lo
	s_delay_alu instid0(VALU_DEP_1)
	v_cmpx_eq_u32_e32 0, v0
	s_xor_b32 s7, exec_lo, s7
	s_cbranch_execz .LBB19_13
; %bb.12:
	v_dual_mov_b32 v0, 0 :: v_dual_mov_b32 v1, s1
	global_atomic_min_i32 v0, v1, s[2:3] scope:SCOPE_DEV
.LBB19_13:
	s_wait_xcnt 0x0
	s_or_b32 exec_lo, exec_lo, s7
                                        ; implicit-def: $vgpr2_vgpr3
.LBB19_14:
	s_or_saveexec_b32 s0, s0
	v_mov_b64_e32 v[4:5], 1.0
	v_mov_b64_e32 v[6:7], 0
	s_xor_b32 exec_lo, exec_lo, s0
	s_cbranch_execz .LBB19_16
; %bb.15:
	v_mul_f64_e32 v[4:5], v[2:3], v[2:3]
	s_delay_alu instid0(VALU_DEP_1) | instskip(NEXT) | instid1(VALU_DEP_1)
	v_fmac_f64_e32 v[4:5], v[0:1], v[0:1]
	v_div_scale_f64 v[6:7], null, v[4:5], v[4:5], 1.0
	v_div_scale_f64 v[14:15], vcc_lo, 1.0, v[4:5], 1.0
	s_delay_alu instid0(VALU_DEP_2) | instskip(SKIP_1) | instid1(TRANS32_DEP_1)
	v_rcp_f64_e32 v[10:11], v[6:7]
	v_nop
	v_fma_f64 v[12:13], -v[6:7], v[10:11], 1.0
	s_delay_alu instid0(VALU_DEP_1) | instskip(NEXT) | instid1(VALU_DEP_1)
	v_fmac_f64_e32 v[10:11], v[10:11], v[12:13]
	v_fma_f64 v[12:13], -v[6:7], v[10:11], 1.0
	s_delay_alu instid0(VALU_DEP_1) | instskip(NEXT) | instid1(VALU_DEP_1)
	v_fmac_f64_e32 v[10:11], v[10:11], v[12:13]
	v_mul_f64_e32 v[12:13], v[14:15], v[10:11]
	s_delay_alu instid0(VALU_DEP_1) | instskip(NEXT) | instid1(VALU_DEP_1)
	v_fma_f64 v[6:7], -v[6:7], v[12:13], v[14:15]
	v_div_fmas_f64 v[6:7], v[6:7], v[10:11], v[12:13]
	v_fmamk_f64 v[10:11], v[2:3], 0x80000000, v[0:1]
	v_fmac_f64_e32 v[2:3], 0, v[0:1]
	s_delay_alu instid0(VALU_DEP_3) | instskip(NEXT) | instid1(VALU_DEP_1)
	v_div_fixup_f64 v[6:7], v[6:7], v[4:5], 1.0
	v_mul_f64_e32 v[4:5], v[10:11], v[6:7]
	s_delay_alu instid0(VALU_DEP_3)
	v_mul_f64_e32 v[6:7], v[2:3], v[6:7]
.LBB19_16:
	s_or_b32 exec_lo, exec_lo, s0
.LBB19_17:
	s_delay_alu instid0(SALU_CYCLE_1)
	s_or_b32 exec_lo, exec_lo, s6
	s_wait_kmcnt 0x0
	v_lshl_add_u64 v[0:1], v[8:9], 4, s[4:5]
	global_store_b128 v[0:1], v[4:7], off
.LBB19_18:
	s_endpgm
	.section	.rodata,"a",@progbits
	.p2align	6, 0x0
	.amdhsa_kernel _ZN12_GLOBAL__N_129calculator_inverse_diagonal_tI21rocsparse_complex_numIdEliE23kernel_inverse_diagonalILj1024ELb1EEEviPKiPKS2_21rocsparse_index_base_PS2_PKliS9_Pi
		.amdhsa_group_segment_fixed_size 0
		.amdhsa_private_segment_fixed_size 0
		.amdhsa_kernarg_size 64
		.amdhsa_user_sgpr_count 2
		.amdhsa_user_sgpr_dispatch_ptr 0
		.amdhsa_user_sgpr_queue_ptr 0
		.amdhsa_user_sgpr_kernarg_segment_ptr 1
		.amdhsa_user_sgpr_dispatch_id 0
		.amdhsa_user_sgpr_kernarg_preload_length 0
		.amdhsa_user_sgpr_kernarg_preload_offset 0
		.amdhsa_user_sgpr_private_segment_size 0
		.amdhsa_wavefront_size32 1
		.amdhsa_uses_dynamic_stack 0
		.amdhsa_enable_private_segment 0
		.amdhsa_system_sgpr_workgroup_id_x 1
		.amdhsa_system_sgpr_workgroup_id_y 0
		.amdhsa_system_sgpr_workgroup_id_z 0
		.amdhsa_system_sgpr_workgroup_info 0
		.amdhsa_system_vgpr_workitem_id 0
		.amdhsa_next_free_vgpr 16
		.amdhsa_next_free_sgpr 12
		.amdhsa_named_barrier_count 0
		.amdhsa_reserve_vcc 1
		.amdhsa_float_round_mode_32 0
		.amdhsa_float_round_mode_16_64 0
		.amdhsa_float_denorm_mode_32 3
		.amdhsa_float_denorm_mode_16_64 3
		.amdhsa_fp16_overflow 0
		.amdhsa_memory_ordered 1
		.amdhsa_forward_progress 1
		.amdhsa_inst_pref_size 6
		.amdhsa_round_robin_scheduling 0
		.amdhsa_exception_fp_ieee_invalid_op 0
		.amdhsa_exception_fp_denorm_src 0
		.amdhsa_exception_fp_ieee_div_zero 0
		.amdhsa_exception_fp_ieee_overflow 0
		.amdhsa_exception_fp_ieee_underflow 0
		.amdhsa_exception_fp_ieee_inexact 0
		.amdhsa_exception_int_div_zero 0
	.end_amdhsa_kernel
	.section	.text._ZN12_GLOBAL__N_129calculator_inverse_diagonal_tI21rocsparse_complex_numIdEliE23kernel_inverse_diagonalILj1024ELb1EEEviPKiPKS2_21rocsparse_index_base_PS2_PKliS9_Pi,"axG",@progbits,_ZN12_GLOBAL__N_129calculator_inverse_diagonal_tI21rocsparse_complex_numIdEliE23kernel_inverse_diagonalILj1024ELb1EEEviPKiPKS2_21rocsparse_index_base_PS2_PKliS9_Pi,comdat
.Lfunc_end19:
	.size	_ZN12_GLOBAL__N_129calculator_inverse_diagonal_tI21rocsparse_complex_numIdEliE23kernel_inverse_diagonalILj1024ELb1EEEviPKiPKS2_21rocsparse_index_base_PS2_PKliS9_Pi, .Lfunc_end19-_ZN12_GLOBAL__N_129calculator_inverse_diagonal_tI21rocsparse_complex_numIdEliE23kernel_inverse_diagonalILj1024ELb1EEEviPKiPKS2_21rocsparse_index_base_PS2_PKliS9_Pi
                                        ; -- End function
	.set _ZN12_GLOBAL__N_129calculator_inverse_diagonal_tI21rocsparse_complex_numIdEliE23kernel_inverse_diagonalILj1024ELb1EEEviPKiPKS2_21rocsparse_index_base_PS2_PKliS9_Pi.num_vgpr, 16
	.set _ZN12_GLOBAL__N_129calculator_inverse_diagonal_tI21rocsparse_complex_numIdEliE23kernel_inverse_diagonalILj1024ELb1EEEviPKiPKS2_21rocsparse_index_base_PS2_PKliS9_Pi.num_agpr, 0
	.set _ZN12_GLOBAL__N_129calculator_inverse_diagonal_tI21rocsparse_complex_numIdEliE23kernel_inverse_diagonalILj1024ELb1EEEviPKiPKS2_21rocsparse_index_base_PS2_PKliS9_Pi.numbered_sgpr, 12
	.set _ZN12_GLOBAL__N_129calculator_inverse_diagonal_tI21rocsparse_complex_numIdEliE23kernel_inverse_diagonalILj1024ELb1EEEviPKiPKS2_21rocsparse_index_base_PS2_PKliS9_Pi.num_named_barrier, 0
	.set _ZN12_GLOBAL__N_129calculator_inverse_diagonal_tI21rocsparse_complex_numIdEliE23kernel_inverse_diagonalILj1024ELb1EEEviPKiPKS2_21rocsparse_index_base_PS2_PKliS9_Pi.private_seg_size, 0
	.set _ZN12_GLOBAL__N_129calculator_inverse_diagonal_tI21rocsparse_complex_numIdEliE23kernel_inverse_diagonalILj1024ELb1EEEviPKiPKS2_21rocsparse_index_base_PS2_PKliS9_Pi.uses_vcc, 1
	.set _ZN12_GLOBAL__N_129calculator_inverse_diagonal_tI21rocsparse_complex_numIdEliE23kernel_inverse_diagonalILj1024ELb1EEEviPKiPKS2_21rocsparse_index_base_PS2_PKliS9_Pi.uses_flat_scratch, 0
	.set _ZN12_GLOBAL__N_129calculator_inverse_diagonal_tI21rocsparse_complex_numIdEliE23kernel_inverse_diagonalILj1024ELb1EEEviPKiPKS2_21rocsparse_index_base_PS2_PKliS9_Pi.has_dyn_sized_stack, 0
	.set _ZN12_GLOBAL__N_129calculator_inverse_diagonal_tI21rocsparse_complex_numIdEliE23kernel_inverse_diagonalILj1024ELb1EEEviPKiPKS2_21rocsparse_index_base_PS2_PKliS9_Pi.has_recursion, 0
	.set _ZN12_GLOBAL__N_129calculator_inverse_diagonal_tI21rocsparse_complex_numIdEliE23kernel_inverse_diagonalILj1024ELb1EEEviPKiPKS2_21rocsparse_index_base_PS2_PKliS9_Pi.has_indirect_call, 0
	.section	.AMDGPU.csdata,"",@progbits
; Kernel info:
; codeLenInByte = 740
; TotalNumSgprs: 14
; NumVgprs: 16
; ScratchSize: 0
; MemoryBound: 0
; FloatMode: 240
; IeeeMode: 1
; LDSByteSize: 0 bytes/workgroup (compile time only)
; SGPRBlocks: 0
; VGPRBlocks: 0
; NumSGPRsForWavesPerEU: 14
; NumVGPRsForWavesPerEU: 16
; NamedBarCnt: 0
; Occupancy: 16
; WaveLimiterHint : 1
; COMPUTE_PGM_RSRC2:SCRATCH_EN: 0
; COMPUTE_PGM_RSRC2:USER_SGPR: 2
; COMPUTE_PGM_RSRC2:TRAP_HANDLER: 0
; COMPUTE_PGM_RSRC2:TGID_X_EN: 1
; COMPUTE_PGM_RSRC2:TGID_Y_EN: 0
; COMPUTE_PGM_RSRC2:TGID_Z_EN: 0
; COMPUTE_PGM_RSRC2:TIDIG_COMP_CNT: 0
	.section	.text._ZN12_GLOBAL__N_129calculator_inverse_diagonal_tIfllE23kernel_inverse_diagonalILj1024ELb0EEEvlPKlPKf21rocsparse_index_base_PfS4_lS7_Pi,"axG",@progbits,_ZN12_GLOBAL__N_129calculator_inverse_diagonal_tIfllE23kernel_inverse_diagonalILj1024ELb0EEEvlPKlPKf21rocsparse_index_base_PfS4_lS7_Pi,comdat
	.globl	_ZN12_GLOBAL__N_129calculator_inverse_diagonal_tIfllE23kernel_inverse_diagonalILj1024ELb0EEEvlPKlPKf21rocsparse_index_base_PfS4_lS7_Pi ; -- Begin function _ZN12_GLOBAL__N_129calculator_inverse_diagonal_tIfllE23kernel_inverse_diagonalILj1024ELb0EEEvlPKlPKf21rocsparse_index_base_PfS4_lS7_Pi
	.p2align	8
	.type	_ZN12_GLOBAL__N_129calculator_inverse_diagonal_tIfllE23kernel_inverse_diagonalILj1024ELb0EEEvlPKlPKf21rocsparse_index_base_PfS4_lS7_Pi,@function
_ZN12_GLOBAL__N_129calculator_inverse_diagonal_tIfllE23kernel_inverse_diagonalILj1024ELb0EEEvlPKlPKf21rocsparse_index_base_PfS4_lS7_Pi: ; @_ZN12_GLOBAL__N_129calculator_inverse_diagonal_tIfllE23kernel_inverse_diagonalILj1024ELb0EEEvlPKlPKf21rocsparse_index_base_PfS4_lS7_Pi
; %bb.0:
	s_load_b64 s[2:3], s[0:1], 0x0
	s_bfe_u32 s4, ttmp6, 0x4000c
	s_and_b32 s5, ttmp6, 15
	s_add_co_i32 s4, s4, 1
	s_getreg_b32 s6, hwreg(HW_REG_IB_STS2, 6, 4)
	s_mul_i32 s4, ttmp9, s4
	v_mov_b32_e32 v1, 0
	s_add_co_i32 s5, s5, s4
	s_cmp_eq_u32 s6, 0
	s_cselect_b32 s4, ttmp9, s5
	s_mov_b32 s5, 0
	v_lshl_or_b32 v0, s4, 10, v0
	s_wait_kmcnt 0x0
	s_delay_alu instid0(VALU_DEP_1)
	v_cmp_gt_i64_e32 vcc_lo, s[2:3], v[0:1]
	s_and_saveexec_b32 s2, vcc_lo
	s_cbranch_execz .LBB20_18
; %bb.1:
	s_clause 0x3
	s_load_b128 s[8:11], s[0:1], 0x28
	s_load_b32 s2, s[0:1], 0x38
	s_load_b64 s[6:7], s[0:1], 0x8
	s_load_b32 s4, s[0:1], 0x18
	s_mov_b32 s3, s5
	s_wait_kmcnt 0x0
	v_lshl_add_u64 v[2:3], v[0:1], 3, s[8:9]
	global_load_b64 v[2:3], v[2:3], off
	s_wait_loadcnt 0x0
	v_sub_nc_u64_e64 v[2:3], v[2:3], s[2:3]
	s_load_b64 s[2:3], s[0:1], 0x40
	s_delay_alu instid0(VALU_DEP_1) | instskip(NEXT) | instid1(VALU_DEP_1)
	v_add_nc_u64_e32 v[2:3], s[10:11], v[2:3]
	v_lshl_add_u64 v[4:5], v[2:3], 3, s[6:7]
	global_load_b64 v[4:5], v[4:5], off
	s_wait_loadcnt 0x0
	v_sub_nc_u64_e64 v[4:5], v[4:5], s[4:5]
	s_mov_b32 s5, exec_lo
	s_delay_alu instid0(VALU_DEP_1)
	v_cmpx_ne_u64_e64 v[4:5], v[0:1]
	s_xor_b32 s5, exec_lo, s5
	s_cbranch_execz .LBB20_7
; %bb.2:
	v_add_nc_u32_e32 v2, s4, v0
	s_mov_b32 s7, exec_lo
	s_brev_b32 s6, -2
.LBB20_3:                               ; =>This Inner Loop Header: Depth=1
	s_ctz_i32_b32 s8, s7
	s_delay_alu instid0(VALU_DEP_1) | instid1(SALU_CYCLE_1)
	v_readlane_b32 s9, v2, s8
	s_lshl_b32 s8, 1, s8
	s_delay_alu instid0(SALU_CYCLE_1)
	s_and_not1_b32 s7, s7, s8
	s_min_i32 s6, s6, s9
	s_cmp_lg_u32 s7, 0
	s_cbranch_scc1 .LBB20_3
; %bb.4:
	v_mbcnt_lo_u32_b32 v2, exec_lo, 0
	s_mov_b32 s7, exec_lo
	s_delay_alu instid0(VALU_DEP_1)
	v_cmpx_eq_u32_e32 0, v2
	s_xor_b32 s7, exec_lo, s7
	s_cbranch_execz .LBB20_6
; %bb.5:
	v_dual_mov_b32 v2, 0 :: v_dual_mov_b32 v3, s6
	s_wait_kmcnt 0x0
	global_atomic_min_i32 v2, v3, s[2:3] scope:SCOPE_DEV
.LBB20_6:
	s_wait_xcnt 0x0
	s_or_b32 exec_lo, exec_lo, s7
                                        ; implicit-def: $vgpr2_vgpr3
.LBB20_7:
	s_or_saveexec_b32 s5, s5
	s_load_b64 s[6:7], s[0:1], 0x20
	v_mov_b32_e32 v4, 1.0
	s_xor_b32 exec_lo, exec_lo, s5
	s_cbranch_execz .LBB20_17
; %bb.8:
	s_wait_xcnt 0x0
	s_load_b64 s[0:1], s[0:1], 0x10
	s_wait_kmcnt 0x0
	v_lshl_add_u64 v[2:3], v[2:3], 2, s[0:1]
	s_mov_b32 s0, exec_lo
	global_load_b32 v2, v[2:3], off
	s_wait_loadcnt 0x0
	v_cmpx_eq_f32_e32 0, v2
	s_xor_b32 s0, exec_lo, s0
	s_cbranch_execz .LBB20_14
; %bb.9:
	v_add_nc_u32_e32 v2, s4, v0
	s_mov_b32 s8, exec_lo
	s_brev_b32 s1, -2
.LBB20_10:                              ; =>This Inner Loop Header: Depth=1
	s_ctz_i32_b32 s4, s8
	s_delay_alu instid0(VALU_DEP_1) | instid1(SALU_CYCLE_1)
	v_readlane_b32 s9, v2, s4
	s_lshl_b32 s4, 1, s4
	s_delay_alu instid0(SALU_CYCLE_1)
	s_and_not1_b32 s8, s8, s4
	s_min_i32 s1, s1, s9
	s_cmp_lg_u32 s8, 0
	s_cbranch_scc1 .LBB20_10
; %bb.11:
	v_mbcnt_lo_u32_b32 v2, exec_lo, 0
	s_mov_b32 s4, exec_lo
	s_delay_alu instid0(VALU_DEP_1)
	v_cmpx_eq_u32_e32 0, v2
	s_xor_b32 s4, exec_lo, s4
	s_cbranch_execz .LBB20_13
; %bb.12:
	v_dual_mov_b32 v2, 0 :: v_dual_mov_b32 v3, s1
	global_atomic_min_i32 v2, v3, s[2:3] scope:SCOPE_DEV
.LBB20_13:
	s_wait_xcnt 0x0
	s_or_b32 exec_lo, exec_lo, s4
                                        ; implicit-def: $vgpr2
.LBB20_14:
	s_or_saveexec_b32 s0, s0
	v_mov_b32_e32 v4, 1.0
	s_xor_b32 exec_lo, exec_lo, s0
	s_cbranch_execz .LBB20_16
; %bb.15:
	v_div_scale_f32 v3, null, v2, v2, 1.0
	s_delay_alu instid0(VALU_DEP_1) | instskip(SKIP_1) | instid1(TRANS32_DEP_1)
	v_rcp_f32_e32 v4, v3
	v_nop
	v_fma_f32 v5, -v3, v4, 1.0
	s_delay_alu instid0(VALU_DEP_1) | instskip(SKIP_1) | instid1(VALU_DEP_1)
	v_fmac_f32_e32 v4, v5, v4
	v_div_scale_f32 v5, vcc_lo, 1.0, v2, 1.0
	v_mul_f32_e32 v6, v5, v4
	s_delay_alu instid0(VALU_DEP_1) | instskip(NEXT) | instid1(VALU_DEP_1)
	v_fma_f32 v7, -v3, v6, v5
	v_fmac_f32_e32 v6, v7, v4
	s_delay_alu instid0(VALU_DEP_1) | instskip(NEXT) | instid1(VALU_DEP_1)
	v_fma_f32 v3, -v3, v6, v5
	v_div_fmas_f32 v3, v3, v4, v6
	s_delay_alu instid0(VALU_DEP_1)
	v_div_fixup_f32 v4, v3, v2, 1.0
.LBB20_16:
	s_or_b32 exec_lo, exec_lo, s0
.LBB20_17:
	s_delay_alu instid0(SALU_CYCLE_1)
	s_or_b32 exec_lo, exec_lo, s5
	s_wait_kmcnt 0x0
	v_lshl_add_u64 v[0:1], v[0:1], 2, s[6:7]
	global_store_b32 v[0:1], v4, off
.LBB20_18:
	s_endpgm
	.section	.rodata,"a",@progbits
	.p2align	6, 0x0
	.amdhsa_kernel _ZN12_GLOBAL__N_129calculator_inverse_diagonal_tIfllE23kernel_inverse_diagonalILj1024ELb0EEEvlPKlPKf21rocsparse_index_base_PfS4_lS7_Pi
		.amdhsa_group_segment_fixed_size 0
		.amdhsa_private_segment_fixed_size 0
		.amdhsa_kernarg_size 72
		.amdhsa_user_sgpr_count 2
		.amdhsa_user_sgpr_dispatch_ptr 0
		.amdhsa_user_sgpr_queue_ptr 0
		.amdhsa_user_sgpr_kernarg_segment_ptr 1
		.amdhsa_user_sgpr_dispatch_id 0
		.amdhsa_user_sgpr_kernarg_preload_length 0
		.amdhsa_user_sgpr_kernarg_preload_offset 0
		.amdhsa_user_sgpr_private_segment_size 0
		.amdhsa_wavefront_size32 1
		.amdhsa_uses_dynamic_stack 0
		.amdhsa_enable_private_segment 0
		.amdhsa_system_sgpr_workgroup_id_x 1
		.amdhsa_system_sgpr_workgroup_id_y 0
		.amdhsa_system_sgpr_workgroup_id_z 0
		.amdhsa_system_sgpr_workgroup_info 0
		.amdhsa_system_vgpr_workitem_id 0
		.amdhsa_next_free_vgpr 8
		.amdhsa_next_free_sgpr 12
		.amdhsa_named_barrier_count 0
		.amdhsa_reserve_vcc 1
		.amdhsa_float_round_mode_32 0
		.amdhsa_float_round_mode_16_64 0
		.amdhsa_float_denorm_mode_32 3
		.amdhsa_float_denorm_mode_16_64 3
		.amdhsa_fp16_overflow 0
		.amdhsa_memory_ordered 1
		.amdhsa_forward_progress 1
		.amdhsa_inst_pref_size 6
		.amdhsa_round_robin_scheduling 0
		.amdhsa_exception_fp_ieee_invalid_op 0
		.amdhsa_exception_fp_denorm_src 0
		.amdhsa_exception_fp_ieee_div_zero 0
		.amdhsa_exception_fp_ieee_overflow 0
		.amdhsa_exception_fp_ieee_underflow 0
		.amdhsa_exception_fp_ieee_inexact 0
		.amdhsa_exception_int_div_zero 0
	.end_amdhsa_kernel
	.section	.text._ZN12_GLOBAL__N_129calculator_inverse_diagonal_tIfllE23kernel_inverse_diagonalILj1024ELb0EEEvlPKlPKf21rocsparse_index_base_PfS4_lS7_Pi,"axG",@progbits,_ZN12_GLOBAL__N_129calculator_inverse_diagonal_tIfllE23kernel_inverse_diagonalILj1024ELb0EEEvlPKlPKf21rocsparse_index_base_PfS4_lS7_Pi,comdat
.Lfunc_end20:
	.size	_ZN12_GLOBAL__N_129calculator_inverse_diagonal_tIfllE23kernel_inverse_diagonalILj1024ELb0EEEvlPKlPKf21rocsparse_index_base_PfS4_lS7_Pi, .Lfunc_end20-_ZN12_GLOBAL__N_129calculator_inverse_diagonal_tIfllE23kernel_inverse_diagonalILj1024ELb0EEEvlPKlPKf21rocsparse_index_base_PfS4_lS7_Pi
                                        ; -- End function
	.set _ZN12_GLOBAL__N_129calculator_inverse_diagonal_tIfllE23kernel_inverse_diagonalILj1024ELb0EEEvlPKlPKf21rocsparse_index_base_PfS4_lS7_Pi.num_vgpr, 8
	.set _ZN12_GLOBAL__N_129calculator_inverse_diagonal_tIfllE23kernel_inverse_diagonalILj1024ELb0EEEvlPKlPKf21rocsparse_index_base_PfS4_lS7_Pi.num_agpr, 0
	.set _ZN12_GLOBAL__N_129calculator_inverse_diagonal_tIfllE23kernel_inverse_diagonalILj1024ELb0EEEvlPKlPKf21rocsparse_index_base_PfS4_lS7_Pi.numbered_sgpr, 12
	.set _ZN12_GLOBAL__N_129calculator_inverse_diagonal_tIfllE23kernel_inverse_diagonalILj1024ELb0EEEvlPKlPKf21rocsparse_index_base_PfS4_lS7_Pi.num_named_barrier, 0
	.set _ZN12_GLOBAL__N_129calculator_inverse_diagonal_tIfllE23kernel_inverse_diagonalILj1024ELb0EEEvlPKlPKf21rocsparse_index_base_PfS4_lS7_Pi.private_seg_size, 0
	.set _ZN12_GLOBAL__N_129calculator_inverse_diagonal_tIfllE23kernel_inverse_diagonalILj1024ELb0EEEvlPKlPKf21rocsparse_index_base_PfS4_lS7_Pi.uses_vcc, 1
	.set _ZN12_GLOBAL__N_129calculator_inverse_diagonal_tIfllE23kernel_inverse_diagonalILj1024ELb0EEEvlPKlPKf21rocsparse_index_base_PfS4_lS7_Pi.uses_flat_scratch, 0
	.set _ZN12_GLOBAL__N_129calculator_inverse_diagonal_tIfllE23kernel_inverse_diagonalILj1024ELb0EEEvlPKlPKf21rocsparse_index_base_PfS4_lS7_Pi.has_dyn_sized_stack, 0
	.set _ZN12_GLOBAL__N_129calculator_inverse_diagonal_tIfllE23kernel_inverse_diagonalILj1024ELb0EEEvlPKlPKf21rocsparse_index_base_PfS4_lS7_Pi.has_recursion, 0
	.set _ZN12_GLOBAL__N_129calculator_inverse_diagonal_tIfllE23kernel_inverse_diagonalILj1024ELb0EEEvlPKlPKf21rocsparse_index_base_PfS4_lS7_Pi.has_indirect_call, 0
	.section	.AMDGPU.csdata,"",@progbits
; Kernel info:
; codeLenInByte = 680
; TotalNumSgprs: 14
; NumVgprs: 8
; ScratchSize: 0
; MemoryBound: 0
; FloatMode: 240
; IeeeMode: 1
; LDSByteSize: 0 bytes/workgroup (compile time only)
; SGPRBlocks: 0
; VGPRBlocks: 0
; NumSGPRsForWavesPerEU: 14
; NumVGPRsForWavesPerEU: 8
; NamedBarCnt: 0
; Occupancy: 16
; WaveLimiterHint : 1
; COMPUTE_PGM_RSRC2:SCRATCH_EN: 0
; COMPUTE_PGM_RSRC2:USER_SGPR: 2
; COMPUTE_PGM_RSRC2:TRAP_HANDLER: 0
; COMPUTE_PGM_RSRC2:TGID_X_EN: 1
; COMPUTE_PGM_RSRC2:TGID_Y_EN: 0
; COMPUTE_PGM_RSRC2:TGID_Z_EN: 0
; COMPUTE_PGM_RSRC2:TIDIG_COMP_CNT: 0
	.section	.text._ZN12_GLOBAL__N_129calculator_inverse_diagonal_tIfllE23kernel_inverse_diagonalILj1024ELb1EEEvlPKlPKf21rocsparse_index_base_PfS4_lS7_Pi,"axG",@progbits,_ZN12_GLOBAL__N_129calculator_inverse_diagonal_tIfllE23kernel_inverse_diagonalILj1024ELb1EEEvlPKlPKf21rocsparse_index_base_PfS4_lS7_Pi,comdat
	.globl	_ZN12_GLOBAL__N_129calculator_inverse_diagonal_tIfllE23kernel_inverse_diagonalILj1024ELb1EEEvlPKlPKf21rocsparse_index_base_PfS4_lS7_Pi ; -- Begin function _ZN12_GLOBAL__N_129calculator_inverse_diagonal_tIfllE23kernel_inverse_diagonalILj1024ELb1EEEvlPKlPKf21rocsparse_index_base_PfS4_lS7_Pi
	.p2align	8
	.type	_ZN12_GLOBAL__N_129calculator_inverse_diagonal_tIfllE23kernel_inverse_diagonalILj1024ELb1EEEvlPKlPKf21rocsparse_index_base_PfS4_lS7_Pi,@function
_ZN12_GLOBAL__N_129calculator_inverse_diagonal_tIfllE23kernel_inverse_diagonalILj1024ELb1EEEvlPKlPKf21rocsparse_index_base_PfS4_lS7_Pi: ; @_ZN12_GLOBAL__N_129calculator_inverse_diagonal_tIfllE23kernel_inverse_diagonalILj1024ELb1EEEvlPKlPKf21rocsparse_index_base_PfS4_lS7_Pi
; %bb.0:
	s_load_b64 s[2:3], s[0:1], 0x0
	s_bfe_u32 s4, ttmp6, 0x4000c
	s_and_b32 s5, ttmp6, 15
	s_add_co_i32 s4, s4, 1
	s_getreg_b32 s6, hwreg(HW_REG_IB_STS2, 6, 4)
	s_mul_i32 s4, ttmp9, s4
	v_mov_b32_e32 v1, 0
	s_add_co_i32 s5, s5, s4
	s_cmp_eq_u32 s6, 0
	s_cselect_b32 s4, ttmp9, s5
	s_mov_b32 s5, 0
	v_lshl_or_b32 v0, s4, 10, v0
	s_wait_kmcnt 0x0
	s_delay_alu instid0(VALU_DEP_1)
	v_cmp_gt_i64_e32 vcc_lo, s[2:3], v[0:1]
	s_and_saveexec_b32 s2, vcc_lo
	s_cbranch_execz .LBB21_18
; %bb.1:
	s_clause 0x3
	s_load_b128 s[8:11], s[0:1], 0x28
	s_load_b32 s2, s[0:1], 0x38
	s_load_b64 s[6:7], s[0:1], 0x8
	s_load_b32 s4, s[0:1], 0x18
	s_mov_b32 s3, s5
	s_wait_kmcnt 0x0
	v_lshl_add_u64 v[2:3], v[0:1], 3, s[8:9]
	global_load_b64 v[2:3], v[2:3], off
	s_wait_loadcnt 0x0
	v_sub_nc_u64_e64 v[2:3], v[2:3], s[2:3]
	s_load_b64 s[2:3], s[0:1], 0x40
	s_delay_alu instid0(VALU_DEP_1) | instskip(NEXT) | instid1(VALU_DEP_1)
	v_add_nc_u64_e32 v[2:3], s[10:11], v[2:3]
	v_lshl_add_u64 v[4:5], v[2:3], 3, s[6:7]
	global_load_b64 v[4:5], v[4:5], off
	s_wait_loadcnt 0x0
	v_sub_nc_u64_e64 v[4:5], v[4:5], s[4:5]
	s_mov_b32 s5, exec_lo
	s_delay_alu instid0(VALU_DEP_1)
	v_cmpx_ne_u64_e64 v[4:5], v[0:1]
	s_xor_b32 s5, exec_lo, s5
	s_cbranch_execz .LBB21_7
; %bb.2:
	v_add_nc_u32_e32 v2, s4, v0
	s_mov_b32 s7, exec_lo
	s_brev_b32 s6, -2
.LBB21_3:                               ; =>This Inner Loop Header: Depth=1
	s_ctz_i32_b32 s8, s7
	s_delay_alu instid0(VALU_DEP_1) | instid1(SALU_CYCLE_1)
	v_readlane_b32 s9, v2, s8
	s_lshl_b32 s8, 1, s8
	s_delay_alu instid0(SALU_CYCLE_1)
	s_and_not1_b32 s7, s7, s8
	s_min_i32 s6, s6, s9
	s_cmp_lg_u32 s7, 0
	s_cbranch_scc1 .LBB21_3
; %bb.4:
	v_mbcnt_lo_u32_b32 v2, exec_lo, 0
	s_mov_b32 s7, exec_lo
	s_delay_alu instid0(VALU_DEP_1)
	v_cmpx_eq_u32_e32 0, v2
	s_xor_b32 s7, exec_lo, s7
	s_cbranch_execz .LBB21_6
; %bb.5:
	v_dual_mov_b32 v2, 0 :: v_dual_mov_b32 v3, s6
	s_wait_kmcnt 0x0
	global_atomic_min_i32 v2, v3, s[2:3] scope:SCOPE_DEV
.LBB21_6:
	s_wait_xcnt 0x0
	s_or_b32 exec_lo, exec_lo, s7
                                        ; implicit-def: $vgpr2_vgpr3
.LBB21_7:
	s_or_saveexec_b32 s5, s5
	s_load_b64 s[6:7], s[0:1], 0x20
	v_mov_b32_e32 v4, 1.0
	s_xor_b32 exec_lo, exec_lo, s5
	s_cbranch_execz .LBB21_17
; %bb.8:
	s_wait_xcnt 0x0
	s_load_b64 s[0:1], s[0:1], 0x10
	s_wait_kmcnt 0x0
	v_lshl_add_u64 v[2:3], v[2:3], 2, s[0:1]
	s_mov_b32 s0, exec_lo
	global_load_b32 v2, v[2:3], off
	s_wait_loadcnt 0x0
	v_cmpx_eq_f32_e32 0, v2
	s_xor_b32 s0, exec_lo, s0
	s_cbranch_execz .LBB21_14
; %bb.9:
	v_add_nc_u32_e32 v2, s4, v0
	s_mov_b32 s8, exec_lo
	s_brev_b32 s1, -2
.LBB21_10:                              ; =>This Inner Loop Header: Depth=1
	s_ctz_i32_b32 s4, s8
	s_delay_alu instid0(VALU_DEP_1) | instid1(SALU_CYCLE_1)
	v_readlane_b32 s9, v2, s4
	s_lshl_b32 s4, 1, s4
	s_delay_alu instid0(SALU_CYCLE_1)
	s_and_not1_b32 s8, s8, s4
	s_min_i32 s1, s1, s9
	s_cmp_lg_u32 s8, 0
	s_cbranch_scc1 .LBB21_10
; %bb.11:
	v_mbcnt_lo_u32_b32 v2, exec_lo, 0
	s_mov_b32 s4, exec_lo
	s_delay_alu instid0(VALU_DEP_1)
	v_cmpx_eq_u32_e32 0, v2
	s_xor_b32 s4, exec_lo, s4
	s_cbranch_execz .LBB21_13
; %bb.12:
	v_dual_mov_b32 v2, 0 :: v_dual_mov_b32 v3, s1
	global_atomic_min_i32 v2, v3, s[2:3] scope:SCOPE_DEV
.LBB21_13:
	s_wait_xcnt 0x0
	s_or_b32 exec_lo, exec_lo, s4
                                        ; implicit-def: $vgpr2
.LBB21_14:
	s_or_saveexec_b32 s0, s0
	v_mov_b32_e32 v4, 1.0
	s_xor_b32 exec_lo, exec_lo, s0
	s_cbranch_execz .LBB21_16
; %bb.15:
	v_div_scale_f32 v3, null, v2, v2, 1.0
	s_delay_alu instid0(VALU_DEP_1) | instskip(SKIP_1) | instid1(TRANS32_DEP_1)
	v_rcp_f32_e32 v4, v3
	v_nop
	v_fma_f32 v5, -v3, v4, 1.0
	s_delay_alu instid0(VALU_DEP_1) | instskip(SKIP_1) | instid1(VALU_DEP_1)
	v_fmac_f32_e32 v4, v5, v4
	v_div_scale_f32 v5, vcc_lo, 1.0, v2, 1.0
	v_mul_f32_e32 v6, v5, v4
	s_delay_alu instid0(VALU_DEP_1) | instskip(NEXT) | instid1(VALU_DEP_1)
	v_fma_f32 v7, -v3, v6, v5
	v_fmac_f32_e32 v6, v7, v4
	s_delay_alu instid0(VALU_DEP_1) | instskip(NEXT) | instid1(VALU_DEP_1)
	v_fma_f32 v3, -v3, v6, v5
	v_div_fmas_f32 v3, v3, v4, v6
	s_delay_alu instid0(VALU_DEP_1)
	v_div_fixup_f32 v4, v3, v2, 1.0
.LBB21_16:
	s_or_b32 exec_lo, exec_lo, s0
.LBB21_17:
	s_delay_alu instid0(SALU_CYCLE_1)
	s_or_b32 exec_lo, exec_lo, s5
	s_wait_kmcnt 0x0
	v_lshl_add_u64 v[0:1], v[0:1], 2, s[6:7]
	global_store_b32 v[0:1], v4, off
.LBB21_18:
	s_endpgm
	.section	.rodata,"a",@progbits
	.p2align	6, 0x0
	.amdhsa_kernel _ZN12_GLOBAL__N_129calculator_inverse_diagonal_tIfllE23kernel_inverse_diagonalILj1024ELb1EEEvlPKlPKf21rocsparse_index_base_PfS4_lS7_Pi
		.amdhsa_group_segment_fixed_size 0
		.amdhsa_private_segment_fixed_size 0
		.amdhsa_kernarg_size 72
		.amdhsa_user_sgpr_count 2
		.amdhsa_user_sgpr_dispatch_ptr 0
		.amdhsa_user_sgpr_queue_ptr 0
		.amdhsa_user_sgpr_kernarg_segment_ptr 1
		.amdhsa_user_sgpr_dispatch_id 0
		.amdhsa_user_sgpr_kernarg_preload_length 0
		.amdhsa_user_sgpr_kernarg_preload_offset 0
		.amdhsa_user_sgpr_private_segment_size 0
		.amdhsa_wavefront_size32 1
		.amdhsa_uses_dynamic_stack 0
		.amdhsa_enable_private_segment 0
		.amdhsa_system_sgpr_workgroup_id_x 1
		.amdhsa_system_sgpr_workgroup_id_y 0
		.amdhsa_system_sgpr_workgroup_id_z 0
		.amdhsa_system_sgpr_workgroup_info 0
		.amdhsa_system_vgpr_workitem_id 0
		.amdhsa_next_free_vgpr 8
		.amdhsa_next_free_sgpr 12
		.amdhsa_named_barrier_count 0
		.amdhsa_reserve_vcc 1
		.amdhsa_float_round_mode_32 0
		.amdhsa_float_round_mode_16_64 0
		.amdhsa_float_denorm_mode_32 3
		.amdhsa_float_denorm_mode_16_64 3
		.amdhsa_fp16_overflow 0
		.amdhsa_memory_ordered 1
		.amdhsa_forward_progress 1
		.amdhsa_inst_pref_size 6
		.amdhsa_round_robin_scheduling 0
		.amdhsa_exception_fp_ieee_invalid_op 0
		.amdhsa_exception_fp_denorm_src 0
		.amdhsa_exception_fp_ieee_div_zero 0
		.amdhsa_exception_fp_ieee_overflow 0
		.amdhsa_exception_fp_ieee_underflow 0
		.amdhsa_exception_fp_ieee_inexact 0
		.amdhsa_exception_int_div_zero 0
	.end_amdhsa_kernel
	.section	.text._ZN12_GLOBAL__N_129calculator_inverse_diagonal_tIfllE23kernel_inverse_diagonalILj1024ELb1EEEvlPKlPKf21rocsparse_index_base_PfS4_lS7_Pi,"axG",@progbits,_ZN12_GLOBAL__N_129calculator_inverse_diagonal_tIfllE23kernel_inverse_diagonalILj1024ELb1EEEvlPKlPKf21rocsparse_index_base_PfS4_lS7_Pi,comdat
.Lfunc_end21:
	.size	_ZN12_GLOBAL__N_129calculator_inverse_diagonal_tIfllE23kernel_inverse_diagonalILj1024ELb1EEEvlPKlPKf21rocsparse_index_base_PfS4_lS7_Pi, .Lfunc_end21-_ZN12_GLOBAL__N_129calculator_inverse_diagonal_tIfllE23kernel_inverse_diagonalILj1024ELb1EEEvlPKlPKf21rocsparse_index_base_PfS4_lS7_Pi
                                        ; -- End function
	.set _ZN12_GLOBAL__N_129calculator_inverse_diagonal_tIfllE23kernel_inverse_diagonalILj1024ELb1EEEvlPKlPKf21rocsparse_index_base_PfS4_lS7_Pi.num_vgpr, 8
	.set _ZN12_GLOBAL__N_129calculator_inverse_diagonal_tIfllE23kernel_inverse_diagonalILj1024ELb1EEEvlPKlPKf21rocsparse_index_base_PfS4_lS7_Pi.num_agpr, 0
	.set _ZN12_GLOBAL__N_129calculator_inverse_diagonal_tIfllE23kernel_inverse_diagonalILj1024ELb1EEEvlPKlPKf21rocsparse_index_base_PfS4_lS7_Pi.numbered_sgpr, 12
	.set _ZN12_GLOBAL__N_129calculator_inverse_diagonal_tIfllE23kernel_inverse_diagonalILj1024ELb1EEEvlPKlPKf21rocsparse_index_base_PfS4_lS7_Pi.num_named_barrier, 0
	.set _ZN12_GLOBAL__N_129calculator_inverse_diagonal_tIfllE23kernel_inverse_diagonalILj1024ELb1EEEvlPKlPKf21rocsparse_index_base_PfS4_lS7_Pi.private_seg_size, 0
	.set _ZN12_GLOBAL__N_129calculator_inverse_diagonal_tIfllE23kernel_inverse_diagonalILj1024ELb1EEEvlPKlPKf21rocsparse_index_base_PfS4_lS7_Pi.uses_vcc, 1
	.set _ZN12_GLOBAL__N_129calculator_inverse_diagonal_tIfllE23kernel_inverse_diagonalILj1024ELb1EEEvlPKlPKf21rocsparse_index_base_PfS4_lS7_Pi.uses_flat_scratch, 0
	.set _ZN12_GLOBAL__N_129calculator_inverse_diagonal_tIfllE23kernel_inverse_diagonalILj1024ELb1EEEvlPKlPKf21rocsparse_index_base_PfS4_lS7_Pi.has_dyn_sized_stack, 0
	.set _ZN12_GLOBAL__N_129calculator_inverse_diagonal_tIfllE23kernel_inverse_diagonalILj1024ELb1EEEvlPKlPKf21rocsparse_index_base_PfS4_lS7_Pi.has_recursion, 0
	.set _ZN12_GLOBAL__N_129calculator_inverse_diagonal_tIfllE23kernel_inverse_diagonalILj1024ELb1EEEvlPKlPKf21rocsparse_index_base_PfS4_lS7_Pi.has_indirect_call, 0
	.section	.AMDGPU.csdata,"",@progbits
; Kernel info:
; codeLenInByte = 680
; TotalNumSgprs: 14
; NumVgprs: 8
; ScratchSize: 0
; MemoryBound: 0
; FloatMode: 240
; IeeeMode: 1
; LDSByteSize: 0 bytes/workgroup (compile time only)
; SGPRBlocks: 0
; VGPRBlocks: 0
; NumSGPRsForWavesPerEU: 14
; NumVGPRsForWavesPerEU: 8
; NamedBarCnt: 0
; Occupancy: 16
; WaveLimiterHint : 1
; COMPUTE_PGM_RSRC2:SCRATCH_EN: 0
; COMPUTE_PGM_RSRC2:USER_SGPR: 2
; COMPUTE_PGM_RSRC2:TRAP_HANDLER: 0
; COMPUTE_PGM_RSRC2:TGID_X_EN: 1
; COMPUTE_PGM_RSRC2:TGID_Y_EN: 0
; COMPUTE_PGM_RSRC2:TGID_Z_EN: 0
; COMPUTE_PGM_RSRC2:TIDIG_COMP_CNT: 0
	.section	.text._ZN9rocsparseL26kernel_add_scaled_residualILj1024ElfEEvT0_PKT1_PS2_S4_,"axG",@progbits,_ZN9rocsparseL26kernel_add_scaled_residualILj1024ElfEEvT0_PKT1_PS2_S4_,comdat
	.globl	_ZN9rocsparseL26kernel_add_scaled_residualILj1024ElfEEvT0_PKT1_PS2_S4_ ; -- Begin function _ZN9rocsparseL26kernel_add_scaled_residualILj1024ElfEEvT0_PKT1_PS2_S4_
	.p2align	8
	.type	_ZN9rocsparseL26kernel_add_scaled_residualILj1024ElfEEvT0_PKT1_PS2_S4_,@function
_ZN9rocsparseL26kernel_add_scaled_residualILj1024ElfEEvT0_PKT1_PS2_S4_: ; @_ZN9rocsparseL26kernel_add_scaled_residualILj1024ElfEEvT0_PKT1_PS2_S4_
; %bb.0:
	s_load_b64 s[2:3], s[0:1], 0x0
	s_bfe_u32 s4, ttmp6, 0x4000c
	s_and_b32 s5, ttmp6, 15
	s_add_co_i32 s4, s4, 1
	s_getreg_b32 s6, hwreg(HW_REG_IB_STS2, 6, 4)
	s_mul_i32 s4, ttmp9, s4
	v_mov_b32_e32 v1, 0
	s_add_co_i32 s5, s5, s4
	s_cmp_eq_u32 s6, 0
	s_cselect_b32 s4, ttmp9, s5
	s_delay_alu instid0(SALU_CYCLE_1) | instskip(SKIP_1) | instid1(VALU_DEP_1)
	v_lshl_or_b32 v0, s4, 10, v0
	s_wait_kmcnt 0x0
	v_cmp_gt_i64_e32 vcc_lo, s[2:3], v[0:1]
	s_and_saveexec_b32 s2, vcc_lo
	s_cbranch_execz .LBB22_2
; %bb.1:
	s_clause 0x1
	s_load_b128 s[4:7], s[0:1], 0x8
	s_load_b64 s[2:3], s[0:1], 0x18
	v_lshlrev_b64_e32 v[0:1], 2, v[0:1]
	s_wait_kmcnt 0x0
	s_delay_alu instid0(VALU_DEP_1)
	v_add_nc_u64_e32 v[2:3], s[6:7], v[0:1]
	v_add_nc_u64_e32 v[4:5], s[2:3], v[0:1]
	;; [unrolled: 1-line block ×3, first 2 shown]
	global_load_b32 v6, v[2:3], off
	global_load_b32 v7, v[4:5], off
	;; [unrolled: 1-line block ×3, first 2 shown]
	s_wait_loadcnt 0x0
	v_fmac_f32_e32 v6, v7, v8
	global_store_b32 v[2:3], v6, off
.LBB22_2:
	s_endpgm
	.section	.rodata,"a",@progbits
	.p2align	6, 0x0
	.amdhsa_kernel _ZN9rocsparseL26kernel_add_scaled_residualILj1024ElfEEvT0_PKT1_PS2_S4_
		.amdhsa_group_segment_fixed_size 0
		.amdhsa_private_segment_fixed_size 0
		.amdhsa_kernarg_size 32
		.amdhsa_user_sgpr_count 2
		.amdhsa_user_sgpr_dispatch_ptr 0
		.amdhsa_user_sgpr_queue_ptr 0
		.amdhsa_user_sgpr_kernarg_segment_ptr 1
		.amdhsa_user_sgpr_dispatch_id 0
		.amdhsa_user_sgpr_kernarg_preload_length 0
		.amdhsa_user_sgpr_kernarg_preload_offset 0
		.amdhsa_user_sgpr_private_segment_size 0
		.amdhsa_wavefront_size32 1
		.amdhsa_uses_dynamic_stack 0
		.amdhsa_enable_private_segment 0
		.amdhsa_system_sgpr_workgroup_id_x 1
		.amdhsa_system_sgpr_workgroup_id_y 0
		.amdhsa_system_sgpr_workgroup_id_z 0
		.amdhsa_system_sgpr_workgroup_info 0
		.amdhsa_system_vgpr_workitem_id 0
		.amdhsa_next_free_vgpr 9
		.amdhsa_next_free_sgpr 8
		.amdhsa_named_barrier_count 0
		.amdhsa_reserve_vcc 1
		.amdhsa_float_round_mode_32 0
		.amdhsa_float_round_mode_16_64 0
		.amdhsa_float_denorm_mode_32 3
		.amdhsa_float_denorm_mode_16_64 3
		.amdhsa_fp16_overflow 0
		.amdhsa_memory_ordered 1
		.amdhsa_forward_progress 1
		.amdhsa_inst_pref_size 2
		.amdhsa_round_robin_scheduling 0
		.amdhsa_exception_fp_ieee_invalid_op 0
		.amdhsa_exception_fp_denorm_src 0
		.amdhsa_exception_fp_ieee_div_zero 0
		.amdhsa_exception_fp_ieee_overflow 0
		.amdhsa_exception_fp_ieee_underflow 0
		.amdhsa_exception_fp_ieee_inexact 0
		.amdhsa_exception_int_div_zero 0
	.end_amdhsa_kernel
	.section	.text._ZN9rocsparseL26kernel_add_scaled_residualILj1024ElfEEvT0_PKT1_PS2_S4_,"axG",@progbits,_ZN9rocsparseL26kernel_add_scaled_residualILj1024ElfEEvT0_PKT1_PS2_S4_,comdat
.Lfunc_end22:
	.size	_ZN9rocsparseL26kernel_add_scaled_residualILj1024ElfEEvT0_PKT1_PS2_S4_, .Lfunc_end22-_ZN9rocsparseL26kernel_add_scaled_residualILj1024ElfEEvT0_PKT1_PS2_S4_
                                        ; -- End function
	.set _ZN9rocsparseL26kernel_add_scaled_residualILj1024ElfEEvT0_PKT1_PS2_S4_.num_vgpr, 9
	.set _ZN9rocsparseL26kernel_add_scaled_residualILj1024ElfEEvT0_PKT1_PS2_S4_.num_agpr, 0
	.set _ZN9rocsparseL26kernel_add_scaled_residualILj1024ElfEEvT0_PKT1_PS2_S4_.numbered_sgpr, 8
	.set _ZN9rocsparseL26kernel_add_scaled_residualILj1024ElfEEvT0_PKT1_PS2_S4_.num_named_barrier, 0
	.set _ZN9rocsparseL26kernel_add_scaled_residualILj1024ElfEEvT0_PKT1_PS2_S4_.private_seg_size, 0
	.set _ZN9rocsparseL26kernel_add_scaled_residualILj1024ElfEEvT0_PKT1_PS2_S4_.uses_vcc, 1
	.set _ZN9rocsparseL26kernel_add_scaled_residualILj1024ElfEEvT0_PKT1_PS2_S4_.uses_flat_scratch, 0
	.set _ZN9rocsparseL26kernel_add_scaled_residualILj1024ElfEEvT0_PKT1_PS2_S4_.has_dyn_sized_stack, 0
	.set _ZN9rocsparseL26kernel_add_scaled_residualILj1024ElfEEvT0_PKT1_PS2_S4_.has_recursion, 0
	.set _ZN9rocsparseL26kernel_add_scaled_residualILj1024ElfEEvT0_PKT1_PS2_S4_.has_indirect_call, 0
	.section	.AMDGPU.csdata,"",@progbits
; Kernel info:
; codeLenInByte = 180
; TotalNumSgprs: 10
; NumVgprs: 9
; ScratchSize: 0
; MemoryBound: 0
; FloatMode: 240
; IeeeMode: 1
; LDSByteSize: 0 bytes/workgroup (compile time only)
; SGPRBlocks: 0
; VGPRBlocks: 0
; NumSGPRsForWavesPerEU: 10
; NumVGPRsForWavesPerEU: 9
; NamedBarCnt: 0
; Occupancy: 16
; WaveLimiterHint : 0
; COMPUTE_PGM_RSRC2:SCRATCH_EN: 0
; COMPUTE_PGM_RSRC2:USER_SGPR: 2
; COMPUTE_PGM_RSRC2:TRAP_HANDLER: 0
; COMPUTE_PGM_RSRC2:TGID_X_EN: 1
; COMPUTE_PGM_RSRC2:TGID_Y_EN: 0
; COMPUTE_PGM_RSRC2:TGID_Z_EN: 0
; COMPUTE_PGM_RSRC2:TIDIG_COMP_CNT: 0
	.section	.text._ZN12_GLOBAL__N_129calculator_inverse_diagonal_tIdllE23kernel_inverse_diagonalILj1024ELb0EEEvlPKlPKd21rocsparse_index_base_PdS4_lS7_Pi,"axG",@progbits,_ZN12_GLOBAL__N_129calculator_inverse_diagonal_tIdllE23kernel_inverse_diagonalILj1024ELb0EEEvlPKlPKd21rocsparse_index_base_PdS4_lS7_Pi,comdat
	.globl	_ZN12_GLOBAL__N_129calculator_inverse_diagonal_tIdllE23kernel_inverse_diagonalILj1024ELb0EEEvlPKlPKd21rocsparse_index_base_PdS4_lS7_Pi ; -- Begin function _ZN12_GLOBAL__N_129calculator_inverse_diagonal_tIdllE23kernel_inverse_diagonalILj1024ELb0EEEvlPKlPKd21rocsparse_index_base_PdS4_lS7_Pi
	.p2align	8
	.type	_ZN12_GLOBAL__N_129calculator_inverse_diagonal_tIdllE23kernel_inverse_diagonalILj1024ELb0EEEvlPKlPKd21rocsparse_index_base_PdS4_lS7_Pi,@function
_ZN12_GLOBAL__N_129calculator_inverse_diagonal_tIdllE23kernel_inverse_diagonalILj1024ELb0EEEvlPKlPKd21rocsparse_index_base_PdS4_lS7_Pi: ; @_ZN12_GLOBAL__N_129calculator_inverse_diagonal_tIdllE23kernel_inverse_diagonalILj1024ELb0EEEvlPKlPKd21rocsparse_index_base_PdS4_lS7_Pi
; %bb.0:
	s_load_b64 s[2:3], s[0:1], 0x0
	s_bfe_u32 s4, ttmp6, 0x4000c
	s_and_b32 s5, ttmp6, 15
	s_add_co_i32 s4, s4, 1
	s_getreg_b32 s6, hwreg(HW_REG_IB_STS2, 6, 4)
	s_mul_i32 s4, ttmp9, s4
	v_mov_b32_e32 v1, 0
	s_add_co_i32 s5, s5, s4
	s_cmp_eq_u32 s6, 0
	s_cselect_b32 s4, ttmp9, s5
	s_mov_b32 s5, 0
	v_lshl_or_b32 v0, s4, 10, v0
	s_wait_kmcnt 0x0
	s_delay_alu instid0(VALU_DEP_1)
	v_cmp_gt_i64_e32 vcc_lo, s[2:3], v[0:1]
	s_and_saveexec_b32 s2, vcc_lo
	s_cbranch_execz .LBB23_18
; %bb.1:
	s_clause 0x3
	s_load_b128 s[8:11], s[0:1], 0x28
	s_load_b32 s2, s[0:1], 0x38
	s_load_b64 s[6:7], s[0:1], 0x8
	s_load_b32 s4, s[0:1], 0x18
	s_mov_b32 s3, s5
	s_wait_kmcnt 0x0
	v_lshl_add_u64 v[2:3], v[0:1], 3, s[8:9]
	global_load_b64 v[2:3], v[2:3], off
	s_wait_loadcnt 0x0
	v_sub_nc_u64_e64 v[2:3], v[2:3], s[2:3]
	s_load_b64 s[2:3], s[0:1], 0x40
	s_delay_alu instid0(VALU_DEP_1) | instskip(NEXT) | instid1(VALU_DEP_1)
	v_add_nc_u64_e32 v[2:3], s[10:11], v[2:3]
	v_lshl_add_u64 v[4:5], v[2:3], 3, s[6:7]
	global_load_b64 v[4:5], v[4:5], off
	s_wait_loadcnt 0x0
	v_sub_nc_u64_e64 v[4:5], v[4:5], s[4:5]
	s_mov_b32 s5, exec_lo
	s_delay_alu instid0(VALU_DEP_1)
	v_cmpx_ne_u64_e64 v[4:5], v[0:1]
	s_xor_b32 s5, exec_lo, s5
	s_cbranch_execz .LBB23_7
; %bb.2:
	v_add_nc_u32_e32 v2, s4, v0
	s_mov_b32 s7, exec_lo
	s_brev_b32 s6, -2
.LBB23_3:                               ; =>This Inner Loop Header: Depth=1
	s_ctz_i32_b32 s8, s7
	s_delay_alu instid0(VALU_DEP_1) | instid1(SALU_CYCLE_1)
	v_readlane_b32 s9, v2, s8
	s_lshl_b32 s8, 1, s8
	s_delay_alu instid0(SALU_CYCLE_1)
	s_and_not1_b32 s7, s7, s8
	s_min_i32 s6, s6, s9
	s_cmp_lg_u32 s7, 0
	s_cbranch_scc1 .LBB23_3
; %bb.4:
	v_mbcnt_lo_u32_b32 v2, exec_lo, 0
	s_mov_b32 s7, exec_lo
	s_delay_alu instid0(VALU_DEP_1)
	v_cmpx_eq_u32_e32 0, v2
	s_xor_b32 s7, exec_lo, s7
	s_cbranch_execz .LBB23_6
; %bb.5:
	v_dual_mov_b32 v2, 0 :: v_dual_mov_b32 v3, s6
	s_wait_kmcnt 0x0
	global_atomic_min_i32 v2, v3, s[2:3] scope:SCOPE_DEV
.LBB23_6:
	s_wait_xcnt 0x0
	s_or_b32 exec_lo, exec_lo, s7
                                        ; implicit-def: $vgpr2_vgpr3
.LBB23_7:
	s_or_saveexec_b32 s5, s5
	s_load_b64 s[6:7], s[0:1], 0x20
	v_mov_b64_e32 v[4:5], 1.0
	s_xor_b32 exec_lo, exec_lo, s5
	s_cbranch_execz .LBB23_17
; %bb.8:
	s_wait_xcnt 0x0
	s_load_b64 s[0:1], s[0:1], 0x10
	s_wait_kmcnt 0x0
	v_lshl_add_u64 v[2:3], v[2:3], 3, s[0:1]
	s_mov_b32 s0, exec_lo
	global_load_b64 v[2:3], v[2:3], off
	s_wait_loadcnt 0x0
	v_cmpx_eq_f64_e32 0, v[2:3]
	s_xor_b32 s0, exec_lo, s0
	s_cbranch_execz .LBB23_14
; %bb.9:
	v_add_nc_u32_e32 v2, s4, v0
	s_mov_b32 s8, exec_lo
	s_brev_b32 s1, -2
.LBB23_10:                              ; =>This Inner Loop Header: Depth=1
	s_ctz_i32_b32 s4, s8
	s_delay_alu instid0(VALU_DEP_1) | instid1(SALU_CYCLE_1)
	v_readlane_b32 s9, v2, s4
	s_lshl_b32 s4, 1, s4
	s_delay_alu instid0(SALU_CYCLE_1)
	s_and_not1_b32 s8, s8, s4
	s_min_i32 s1, s1, s9
	s_cmp_lg_u32 s8, 0
	s_cbranch_scc1 .LBB23_10
; %bb.11:
	v_mbcnt_lo_u32_b32 v2, exec_lo, 0
	s_mov_b32 s4, exec_lo
	s_delay_alu instid0(VALU_DEP_1)
	v_cmpx_eq_u32_e32 0, v2
	s_xor_b32 s4, exec_lo, s4
	s_cbranch_execz .LBB23_13
; %bb.12:
	v_dual_mov_b32 v2, 0 :: v_dual_mov_b32 v3, s1
	global_atomic_min_i32 v2, v3, s[2:3] scope:SCOPE_DEV
.LBB23_13:
	s_wait_xcnt 0x0
	s_or_b32 exec_lo, exec_lo, s4
                                        ; implicit-def: $vgpr2_vgpr3
.LBB23_14:
	s_or_saveexec_b32 s0, s0
	v_mov_b64_e32 v[4:5], 1.0
	s_xor_b32 exec_lo, exec_lo, s0
	s_cbranch_execz .LBB23_16
; %bb.15:
	v_div_scale_f64 v[4:5], null, v[2:3], v[2:3], 1.0
	s_delay_alu instid0(VALU_DEP_1) | instskip(SKIP_1) | instid1(TRANS32_DEP_1)
	v_rcp_f64_e32 v[6:7], v[4:5]
	v_nop
	v_fma_f64 v[8:9], -v[4:5], v[6:7], 1.0
	s_delay_alu instid0(VALU_DEP_1) | instskip(NEXT) | instid1(VALU_DEP_1)
	v_fmac_f64_e32 v[6:7], v[6:7], v[8:9]
	v_fma_f64 v[8:9], -v[4:5], v[6:7], 1.0
	s_delay_alu instid0(VALU_DEP_1) | instskip(SKIP_1) | instid1(VALU_DEP_1)
	v_fmac_f64_e32 v[6:7], v[6:7], v[8:9]
	v_div_scale_f64 v[8:9], vcc_lo, 1.0, v[2:3], 1.0
	v_mul_f64_e32 v[10:11], v[8:9], v[6:7]
	s_delay_alu instid0(VALU_DEP_1) | instskip(NEXT) | instid1(VALU_DEP_1)
	v_fma_f64 v[4:5], -v[4:5], v[10:11], v[8:9]
	v_div_fmas_f64 v[4:5], v[4:5], v[6:7], v[10:11]
	s_delay_alu instid0(VALU_DEP_1)
	v_div_fixup_f64 v[4:5], v[4:5], v[2:3], 1.0
.LBB23_16:
	s_or_b32 exec_lo, exec_lo, s0
.LBB23_17:
	s_delay_alu instid0(SALU_CYCLE_1)
	s_or_b32 exec_lo, exec_lo, s5
	s_wait_kmcnt 0x0
	v_lshl_add_u64 v[0:1], v[0:1], 3, s[6:7]
	global_store_b64 v[0:1], v[4:5], off
.LBB23_18:
	s_endpgm
	.section	.rodata,"a",@progbits
	.p2align	6, 0x0
	.amdhsa_kernel _ZN12_GLOBAL__N_129calculator_inverse_diagonal_tIdllE23kernel_inverse_diagonalILj1024ELb0EEEvlPKlPKd21rocsparse_index_base_PdS4_lS7_Pi
		.amdhsa_group_segment_fixed_size 0
		.amdhsa_private_segment_fixed_size 0
		.amdhsa_kernarg_size 72
		.amdhsa_user_sgpr_count 2
		.amdhsa_user_sgpr_dispatch_ptr 0
		.amdhsa_user_sgpr_queue_ptr 0
		.amdhsa_user_sgpr_kernarg_segment_ptr 1
		.amdhsa_user_sgpr_dispatch_id 0
		.amdhsa_user_sgpr_kernarg_preload_length 0
		.amdhsa_user_sgpr_kernarg_preload_offset 0
		.amdhsa_user_sgpr_private_segment_size 0
		.amdhsa_wavefront_size32 1
		.amdhsa_uses_dynamic_stack 0
		.amdhsa_enable_private_segment 0
		.amdhsa_system_sgpr_workgroup_id_x 1
		.amdhsa_system_sgpr_workgroup_id_y 0
		.amdhsa_system_sgpr_workgroup_id_z 0
		.amdhsa_system_sgpr_workgroup_info 0
		.amdhsa_system_vgpr_workitem_id 0
		.amdhsa_next_free_vgpr 12
		.amdhsa_next_free_sgpr 12
		.amdhsa_named_barrier_count 0
		.amdhsa_reserve_vcc 1
		.amdhsa_float_round_mode_32 0
		.amdhsa_float_round_mode_16_64 0
		.amdhsa_float_denorm_mode_32 3
		.amdhsa_float_denorm_mode_16_64 3
		.amdhsa_fp16_overflow 0
		.amdhsa_memory_ordered 1
		.amdhsa_forward_progress 1
		.amdhsa_inst_pref_size 6
		.amdhsa_round_robin_scheduling 0
		.amdhsa_exception_fp_ieee_invalid_op 0
		.amdhsa_exception_fp_denorm_src 0
		.amdhsa_exception_fp_ieee_div_zero 0
		.amdhsa_exception_fp_ieee_overflow 0
		.amdhsa_exception_fp_ieee_underflow 0
		.amdhsa_exception_fp_ieee_inexact 0
		.amdhsa_exception_int_div_zero 0
	.end_amdhsa_kernel
	.section	.text._ZN12_GLOBAL__N_129calculator_inverse_diagonal_tIdllE23kernel_inverse_diagonalILj1024ELb0EEEvlPKlPKd21rocsparse_index_base_PdS4_lS7_Pi,"axG",@progbits,_ZN12_GLOBAL__N_129calculator_inverse_diagonal_tIdllE23kernel_inverse_diagonalILj1024ELb0EEEvlPKlPKd21rocsparse_index_base_PdS4_lS7_Pi,comdat
.Lfunc_end23:
	.size	_ZN12_GLOBAL__N_129calculator_inverse_diagonal_tIdllE23kernel_inverse_diagonalILj1024ELb0EEEvlPKlPKd21rocsparse_index_base_PdS4_lS7_Pi, .Lfunc_end23-_ZN12_GLOBAL__N_129calculator_inverse_diagonal_tIdllE23kernel_inverse_diagonalILj1024ELb0EEEvlPKlPKd21rocsparse_index_base_PdS4_lS7_Pi
                                        ; -- End function
	.set _ZN12_GLOBAL__N_129calculator_inverse_diagonal_tIdllE23kernel_inverse_diagonalILj1024ELb0EEEvlPKlPKd21rocsparse_index_base_PdS4_lS7_Pi.num_vgpr, 12
	.set _ZN12_GLOBAL__N_129calculator_inverse_diagonal_tIdllE23kernel_inverse_diagonalILj1024ELb0EEEvlPKlPKd21rocsparse_index_base_PdS4_lS7_Pi.num_agpr, 0
	.set _ZN12_GLOBAL__N_129calculator_inverse_diagonal_tIdllE23kernel_inverse_diagonalILj1024ELb0EEEvlPKlPKd21rocsparse_index_base_PdS4_lS7_Pi.numbered_sgpr, 12
	.set _ZN12_GLOBAL__N_129calculator_inverse_diagonal_tIdllE23kernel_inverse_diagonalILj1024ELb0EEEvlPKlPKd21rocsparse_index_base_PdS4_lS7_Pi.num_named_barrier, 0
	.set _ZN12_GLOBAL__N_129calculator_inverse_diagonal_tIdllE23kernel_inverse_diagonalILj1024ELb0EEEvlPKlPKd21rocsparse_index_base_PdS4_lS7_Pi.private_seg_size, 0
	.set _ZN12_GLOBAL__N_129calculator_inverse_diagonal_tIdllE23kernel_inverse_diagonalILj1024ELb0EEEvlPKlPKd21rocsparse_index_base_PdS4_lS7_Pi.uses_vcc, 1
	.set _ZN12_GLOBAL__N_129calculator_inverse_diagonal_tIdllE23kernel_inverse_diagonalILj1024ELb0EEEvlPKlPKd21rocsparse_index_base_PdS4_lS7_Pi.uses_flat_scratch, 0
	.set _ZN12_GLOBAL__N_129calculator_inverse_diagonal_tIdllE23kernel_inverse_diagonalILj1024ELb0EEEvlPKlPKd21rocsparse_index_base_PdS4_lS7_Pi.has_dyn_sized_stack, 0
	.set _ZN12_GLOBAL__N_129calculator_inverse_diagonal_tIdllE23kernel_inverse_diagonalILj1024ELb0EEEvlPKlPKd21rocsparse_index_base_PdS4_lS7_Pi.has_recursion, 0
	.set _ZN12_GLOBAL__N_129calculator_inverse_diagonal_tIdllE23kernel_inverse_diagonalILj1024ELb0EEEvlPKlPKd21rocsparse_index_base_PdS4_lS7_Pi.has_indirect_call, 0
	.section	.AMDGPU.csdata,"",@progbits
; Kernel info:
; codeLenInByte = 680
; TotalNumSgprs: 14
; NumVgprs: 12
; ScratchSize: 0
; MemoryBound: 0
; FloatMode: 240
; IeeeMode: 1
; LDSByteSize: 0 bytes/workgroup (compile time only)
; SGPRBlocks: 0
; VGPRBlocks: 0
; NumSGPRsForWavesPerEU: 14
; NumVGPRsForWavesPerEU: 12
; NamedBarCnt: 0
; Occupancy: 16
; WaveLimiterHint : 1
; COMPUTE_PGM_RSRC2:SCRATCH_EN: 0
; COMPUTE_PGM_RSRC2:USER_SGPR: 2
; COMPUTE_PGM_RSRC2:TRAP_HANDLER: 0
; COMPUTE_PGM_RSRC2:TGID_X_EN: 1
; COMPUTE_PGM_RSRC2:TGID_Y_EN: 0
; COMPUTE_PGM_RSRC2:TGID_Z_EN: 0
; COMPUTE_PGM_RSRC2:TIDIG_COMP_CNT: 0
	.section	.text._ZN12_GLOBAL__N_129calculator_inverse_diagonal_tIdllE23kernel_inverse_diagonalILj1024ELb1EEEvlPKlPKd21rocsparse_index_base_PdS4_lS7_Pi,"axG",@progbits,_ZN12_GLOBAL__N_129calculator_inverse_diagonal_tIdllE23kernel_inverse_diagonalILj1024ELb1EEEvlPKlPKd21rocsparse_index_base_PdS4_lS7_Pi,comdat
	.globl	_ZN12_GLOBAL__N_129calculator_inverse_diagonal_tIdllE23kernel_inverse_diagonalILj1024ELb1EEEvlPKlPKd21rocsparse_index_base_PdS4_lS7_Pi ; -- Begin function _ZN12_GLOBAL__N_129calculator_inverse_diagonal_tIdllE23kernel_inverse_diagonalILj1024ELb1EEEvlPKlPKd21rocsparse_index_base_PdS4_lS7_Pi
	.p2align	8
	.type	_ZN12_GLOBAL__N_129calculator_inverse_diagonal_tIdllE23kernel_inverse_diagonalILj1024ELb1EEEvlPKlPKd21rocsparse_index_base_PdS4_lS7_Pi,@function
_ZN12_GLOBAL__N_129calculator_inverse_diagonal_tIdllE23kernel_inverse_diagonalILj1024ELb1EEEvlPKlPKd21rocsparse_index_base_PdS4_lS7_Pi: ; @_ZN12_GLOBAL__N_129calculator_inverse_diagonal_tIdllE23kernel_inverse_diagonalILj1024ELb1EEEvlPKlPKd21rocsparse_index_base_PdS4_lS7_Pi
; %bb.0:
	s_load_b64 s[2:3], s[0:1], 0x0
	s_bfe_u32 s4, ttmp6, 0x4000c
	s_and_b32 s5, ttmp6, 15
	s_add_co_i32 s4, s4, 1
	s_getreg_b32 s6, hwreg(HW_REG_IB_STS2, 6, 4)
	s_mul_i32 s4, ttmp9, s4
	v_mov_b32_e32 v1, 0
	s_add_co_i32 s5, s5, s4
	s_cmp_eq_u32 s6, 0
	s_cselect_b32 s4, ttmp9, s5
	s_mov_b32 s5, 0
	v_lshl_or_b32 v0, s4, 10, v0
	s_wait_kmcnt 0x0
	s_delay_alu instid0(VALU_DEP_1)
	v_cmp_gt_i64_e32 vcc_lo, s[2:3], v[0:1]
	s_and_saveexec_b32 s2, vcc_lo
	s_cbranch_execz .LBB24_18
; %bb.1:
	s_clause 0x3
	s_load_b128 s[8:11], s[0:1], 0x28
	s_load_b32 s2, s[0:1], 0x38
	s_load_b64 s[6:7], s[0:1], 0x8
	s_load_b32 s4, s[0:1], 0x18
	s_mov_b32 s3, s5
	s_wait_kmcnt 0x0
	v_lshl_add_u64 v[2:3], v[0:1], 3, s[8:9]
	global_load_b64 v[2:3], v[2:3], off
	s_wait_loadcnt 0x0
	v_sub_nc_u64_e64 v[2:3], v[2:3], s[2:3]
	s_load_b64 s[2:3], s[0:1], 0x40
	s_delay_alu instid0(VALU_DEP_1) | instskip(NEXT) | instid1(VALU_DEP_1)
	v_add_nc_u64_e32 v[2:3], s[10:11], v[2:3]
	v_lshl_add_u64 v[4:5], v[2:3], 3, s[6:7]
	global_load_b64 v[4:5], v[4:5], off
	s_wait_loadcnt 0x0
	v_sub_nc_u64_e64 v[4:5], v[4:5], s[4:5]
	s_mov_b32 s5, exec_lo
	s_delay_alu instid0(VALU_DEP_1)
	v_cmpx_ne_u64_e64 v[4:5], v[0:1]
	s_xor_b32 s5, exec_lo, s5
	s_cbranch_execz .LBB24_7
; %bb.2:
	v_add_nc_u32_e32 v2, s4, v0
	s_mov_b32 s7, exec_lo
	s_brev_b32 s6, -2
.LBB24_3:                               ; =>This Inner Loop Header: Depth=1
	s_ctz_i32_b32 s8, s7
	s_delay_alu instid0(VALU_DEP_1) | instid1(SALU_CYCLE_1)
	v_readlane_b32 s9, v2, s8
	s_lshl_b32 s8, 1, s8
	s_delay_alu instid0(SALU_CYCLE_1)
	s_and_not1_b32 s7, s7, s8
	s_min_i32 s6, s6, s9
	s_cmp_lg_u32 s7, 0
	s_cbranch_scc1 .LBB24_3
; %bb.4:
	v_mbcnt_lo_u32_b32 v2, exec_lo, 0
	s_mov_b32 s7, exec_lo
	s_delay_alu instid0(VALU_DEP_1)
	v_cmpx_eq_u32_e32 0, v2
	s_xor_b32 s7, exec_lo, s7
	s_cbranch_execz .LBB24_6
; %bb.5:
	v_dual_mov_b32 v2, 0 :: v_dual_mov_b32 v3, s6
	s_wait_kmcnt 0x0
	global_atomic_min_i32 v2, v3, s[2:3] scope:SCOPE_DEV
.LBB24_6:
	s_wait_xcnt 0x0
	s_or_b32 exec_lo, exec_lo, s7
                                        ; implicit-def: $vgpr2_vgpr3
.LBB24_7:
	s_or_saveexec_b32 s5, s5
	s_load_b64 s[6:7], s[0:1], 0x20
	v_mov_b64_e32 v[4:5], 1.0
	s_xor_b32 exec_lo, exec_lo, s5
	s_cbranch_execz .LBB24_17
; %bb.8:
	s_wait_xcnt 0x0
	s_load_b64 s[0:1], s[0:1], 0x10
	s_wait_kmcnt 0x0
	v_lshl_add_u64 v[2:3], v[2:3], 3, s[0:1]
	s_mov_b32 s0, exec_lo
	global_load_b64 v[2:3], v[2:3], off
	s_wait_loadcnt 0x0
	v_cmpx_eq_f64_e32 0, v[2:3]
	s_xor_b32 s0, exec_lo, s0
	s_cbranch_execz .LBB24_14
; %bb.9:
	v_add_nc_u32_e32 v2, s4, v0
	s_mov_b32 s8, exec_lo
	s_brev_b32 s1, -2
.LBB24_10:                              ; =>This Inner Loop Header: Depth=1
	s_ctz_i32_b32 s4, s8
	s_delay_alu instid0(VALU_DEP_1) | instid1(SALU_CYCLE_1)
	v_readlane_b32 s9, v2, s4
	s_lshl_b32 s4, 1, s4
	s_delay_alu instid0(SALU_CYCLE_1)
	s_and_not1_b32 s8, s8, s4
	s_min_i32 s1, s1, s9
	s_cmp_lg_u32 s8, 0
	s_cbranch_scc1 .LBB24_10
; %bb.11:
	v_mbcnt_lo_u32_b32 v2, exec_lo, 0
	s_mov_b32 s4, exec_lo
	s_delay_alu instid0(VALU_DEP_1)
	v_cmpx_eq_u32_e32 0, v2
	s_xor_b32 s4, exec_lo, s4
	s_cbranch_execz .LBB24_13
; %bb.12:
	v_dual_mov_b32 v2, 0 :: v_dual_mov_b32 v3, s1
	global_atomic_min_i32 v2, v3, s[2:3] scope:SCOPE_DEV
.LBB24_13:
	s_wait_xcnt 0x0
	s_or_b32 exec_lo, exec_lo, s4
                                        ; implicit-def: $vgpr2_vgpr3
.LBB24_14:
	s_or_saveexec_b32 s0, s0
	v_mov_b64_e32 v[4:5], 1.0
	s_xor_b32 exec_lo, exec_lo, s0
	s_cbranch_execz .LBB24_16
; %bb.15:
	v_div_scale_f64 v[4:5], null, v[2:3], v[2:3], 1.0
	s_delay_alu instid0(VALU_DEP_1) | instskip(SKIP_1) | instid1(TRANS32_DEP_1)
	v_rcp_f64_e32 v[6:7], v[4:5]
	v_nop
	v_fma_f64 v[8:9], -v[4:5], v[6:7], 1.0
	s_delay_alu instid0(VALU_DEP_1) | instskip(NEXT) | instid1(VALU_DEP_1)
	v_fmac_f64_e32 v[6:7], v[6:7], v[8:9]
	v_fma_f64 v[8:9], -v[4:5], v[6:7], 1.0
	s_delay_alu instid0(VALU_DEP_1) | instskip(SKIP_1) | instid1(VALU_DEP_1)
	v_fmac_f64_e32 v[6:7], v[6:7], v[8:9]
	v_div_scale_f64 v[8:9], vcc_lo, 1.0, v[2:3], 1.0
	v_mul_f64_e32 v[10:11], v[8:9], v[6:7]
	s_delay_alu instid0(VALU_DEP_1) | instskip(NEXT) | instid1(VALU_DEP_1)
	v_fma_f64 v[4:5], -v[4:5], v[10:11], v[8:9]
	v_div_fmas_f64 v[4:5], v[4:5], v[6:7], v[10:11]
	s_delay_alu instid0(VALU_DEP_1)
	v_div_fixup_f64 v[4:5], v[4:5], v[2:3], 1.0
.LBB24_16:
	s_or_b32 exec_lo, exec_lo, s0
.LBB24_17:
	s_delay_alu instid0(SALU_CYCLE_1)
	s_or_b32 exec_lo, exec_lo, s5
	s_wait_kmcnt 0x0
	v_lshl_add_u64 v[0:1], v[0:1], 3, s[6:7]
	global_store_b64 v[0:1], v[4:5], off
.LBB24_18:
	s_endpgm
	.section	.rodata,"a",@progbits
	.p2align	6, 0x0
	.amdhsa_kernel _ZN12_GLOBAL__N_129calculator_inverse_diagonal_tIdllE23kernel_inverse_diagonalILj1024ELb1EEEvlPKlPKd21rocsparse_index_base_PdS4_lS7_Pi
		.amdhsa_group_segment_fixed_size 0
		.amdhsa_private_segment_fixed_size 0
		.amdhsa_kernarg_size 72
		.amdhsa_user_sgpr_count 2
		.amdhsa_user_sgpr_dispatch_ptr 0
		.amdhsa_user_sgpr_queue_ptr 0
		.amdhsa_user_sgpr_kernarg_segment_ptr 1
		.amdhsa_user_sgpr_dispatch_id 0
		.amdhsa_user_sgpr_kernarg_preload_length 0
		.amdhsa_user_sgpr_kernarg_preload_offset 0
		.amdhsa_user_sgpr_private_segment_size 0
		.amdhsa_wavefront_size32 1
		.amdhsa_uses_dynamic_stack 0
		.amdhsa_enable_private_segment 0
		.amdhsa_system_sgpr_workgroup_id_x 1
		.amdhsa_system_sgpr_workgroup_id_y 0
		.amdhsa_system_sgpr_workgroup_id_z 0
		.amdhsa_system_sgpr_workgroup_info 0
		.amdhsa_system_vgpr_workitem_id 0
		.amdhsa_next_free_vgpr 12
		.amdhsa_next_free_sgpr 12
		.amdhsa_named_barrier_count 0
		.amdhsa_reserve_vcc 1
		.amdhsa_float_round_mode_32 0
		.amdhsa_float_round_mode_16_64 0
		.amdhsa_float_denorm_mode_32 3
		.amdhsa_float_denorm_mode_16_64 3
		.amdhsa_fp16_overflow 0
		.amdhsa_memory_ordered 1
		.amdhsa_forward_progress 1
		.amdhsa_inst_pref_size 6
		.amdhsa_round_robin_scheduling 0
		.amdhsa_exception_fp_ieee_invalid_op 0
		.amdhsa_exception_fp_denorm_src 0
		.amdhsa_exception_fp_ieee_div_zero 0
		.amdhsa_exception_fp_ieee_overflow 0
		.amdhsa_exception_fp_ieee_underflow 0
		.amdhsa_exception_fp_ieee_inexact 0
		.amdhsa_exception_int_div_zero 0
	.end_amdhsa_kernel
	.section	.text._ZN12_GLOBAL__N_129calculator_inverse_diagonal_tIdllE23kernel_inverse_diagonalILj1024ELb1EEEvlPKlPKd21rocsparse_index_base_PdS4_lS7_Pi,"axG",@progbits,_ZN12_GLOBAL__N_129calculator_inverse_diagonal_tIdllE23kernel_inverse_diagonalILj1024ELb1EEEvlPKlPKd21rocsparse_index_base_PdS4_lS7_Pi,comdat
.Lfunc_end24:
	.size	_ZN12_GLOBAL__N_129calculator_inverse_diagonal_tIdllE23kernel_inverse_diagonalILj1024ELb1EEEvlPKlPKd21rocsparse_index_base_PdS4_lS7_Pi, .Lfunc_end24-_ZN12_GLOBAL__N_129calculator_inverse_diagonal_tIdllE23kernel_inverse_diagonalILj1024ELb1EEEvlPKlPKd21rocsparse_index_base_PdS4_lS7_Pi
                                        ; -- End function
	.set _ZN12_GLOBAL__N_129calculator_inverse_diagonal_tIdllE23kernel_inverse_diagonalILj1024ELb1EEEvlPKlPKd21rocsparse_index_base_PdS4_lS7_Pi.num_vgpr, 12
	.set _ZN12_GLOBAL__N_129calculator_inverse_diagonal_tIdllE23kernel_inverse_diagonalILj1024ELb1EEEvlPKlPKd21rocsparse_index_base_PdS4_lS7_Pi.num_agpr, 0
	.set _ZN12_GLOBAL__N_129calculator_inverse_diagonal_tIdllE23kernel_inverse_diagonalILj1024ELb1EEEvlPKlPKd21rocsparse_index_base_PdS4_lS7_Pi.numbered_sgpr, 12
	.set _ZN12_GLOBAL__N_129calculator_inverse_diagonal_tIdllE23kernel_inverse_diagonalILj1024ELb1EEEvlPKlPKd21rocsparse_index_base_PdS4_lS7_Pi.num_named_barrier, 0
	.set _ZN12_GLOBAL__N_129calculator_inverse_diagonal_tIdllE23kernel_inverse_diagonalILj1024ELb1EEEvlPKlPKd21rocsparse_index_base_PdS4_lS7_Pi.private_seg_size, 0
	.set _ZN12_GLOBAL__N_129calculator_inverse_diagonal_tIdllE23kernel_inverse_diagonalILj1024ELb1EEEvlPKlPKd21rocsparse_index_base_PdS4_lS7_Pi.uses_vcc, 1
	.set _ZN12_GLOBAL__N_129calculator_inverse_diagonal_tIdllE23kernel_inverse_diagonalILj1024ELb1EEEvlPKlPKd21rocsparse_index_base_PdS4_lS7_Pi.uses_flat_scratch, 0
	.set _ZN12_GLOBAL__N_129calculator_inverse_diagonal_tIdllE23kernel_inverse_diagonalILj1024ELb1EEEvlPKlPKd21rocsparse_index_base_PdS4_lS7_Pi.has_dyn_sized_stack, 0
	.set _ZN12_GLOBAL__N_129calculator_inverse_diagonal_tIdllE23kernel_inverse_diagonalILj1024ELb1EEEvlPKlPKd21rocsparse_index_base_PdS4_lS7_Pi.has_recursion, 0
	.set _ZN12_GLOBAL__N_129calculator_inverse_diagonal_tIdllE23kernel_inverse_diagonalILj1024ELb1EEEvlPKlPKd21rocsparse_index_base_PdS4_lS7_Pi.has_indirect_call, 0
	.section	.AMDGPU.csdata,"",@progbits
; Kernel info:
; codeLenInByte = 680
; TotalNumSgprs: 14
; NumVgprs: 12
; ScratchSize: 0
; MemoryBound: 0
; FloatMode: 240
; IeeeMode: 1
; LDSByteSize: 0 bytes/workgroup (compile time only)
; SGPRBlocks: 0
; VGPRBlocks: 0
; NumSGPRsForWavesPerEU: 14
; NumVGPRsForWavesPerEU: 12
; NamedBarCnt: 0
; Occupancy: 16
; WaveLimiterHint : 1
; COMPUTE_PGM_RSRC2:SCRATCH_EN: 0
; COMPUTE_PGM_RSRC2:USER_SGPR: 2
; COMPUTE_PGM_RSRC2:TRAP_HANDLER: 0
; COMPUTE_PGM_RSRC2:TGID_X_EN: 1
; COMPUTE_PGM_RSRC2:TGID_Y_EN: 0
; COMPUTE_PGM_RSRC2:TGID_Z_EN: 0
; COMPUTE_PGM_RSRC2:TIDIG_COMP_CNT: 0
	.section	.text._ZN9rocsparseL26kernel_add_scaled_residualILj1024EldEEvT0_PKT1_PS2_S4_,"axG",@progbits,_ZN9rocsparseL26kernel_add_scaled_residualILj1024EldEEvT0_PKT1_PS2_S4_,comdat
	.globl	_ZN9rocsparseL26kernel_add_scaled_residualILj1024EldEEvT0_PKT1_PS2_S4_ ; -- Begin function _ZN9rocsparseL26kernel_add_scaled_residualILj1024EldEEvT0_PKT1_PS2_S4_
	.p2align	8
	.type	_ZN9rocsparseL26kernel_add_scaled_residualILj1024EldEEvT0_PKT1_PS2_S4_,@function
_ZN9rocsparseL26kernel_add_scaled_residualILj1024EldEEvT0_PKT1_PS2_S4_: ; @_ZN9rocsparseL26kernel_add_scaled_residualILj1024EldEEvT0_PKT1_PS2_S4_
; %bb.0:
	s_load_b64 s[2:3], s[0:1], 0x0
	s_bfe_u32 s4, ttmp6, 0x4000c
	s_and_b32 s5, ttmp6, 15
	s_add_co_i32 s4, s4, 1
	s_getreg_b32 s6, hwreg(HW_REG_IB_STS2, 6, 4)
	s_mul_i32 s4, ttmp9, s4
	v_mov_b32_e32 v1, 0
	s_add_co_i32 s5, s5, s4
	s_cmp_eq_u32 s6, 0
	s_cselect_b32 s4, ttmp9, s5
	s_delay_alu instid0(SALU_CYCLE_1) | instskip(SKIP_1) | instid1(VALU_DEP_1)
	v_lshl_or_b32 v0, s4, 10, v0
	s_wait_kmcnt 0x0
	v_cmp_gt_i64_e32 vcc_lo, s[2:3], v[0:1]
	s_and_saveexec_b32 s2, vcc_lo
	s_cbranch_execz .LBB25_2
; %bb.1:
	s_clause 0x1
	s_load_b128 s[4:7], s[0:1], 0x8
	s_load_b64 s[2:3], s[0:1], 0x18
	v_lshlrev_b64_e32 v[0:1], 3, v[0:1]
	s_wait_kmcnt 0x0
	s_delay_alu instid0(VALU_DEP_1)
	v_add_nc_u64_e32 v[2:3], s[6:7], v[0:1]
	v_add_nc_u64_e32 v[4:5], s[2:3], v[0:1]
	v_add_nc_u64_e32 v[0:1], s[4:5], v[0:1]
	global_load_b64 v[6:7], v[2:3], off
	global_load_b64 v[8:9], v[4:5], off
	;; [unrolled: 1-line block ×3, first 2 shown]
	s_wait_loadcnt 0x0
	v_fmac_f64_e32 v[6:7], v[8:9], v[10:11]
	global_store_b64 v[2:3], v[6:7], off
.LBB25_2:
	s_endpgm
	.section	.rodata,"a",@progbits
	.p2align	6, 0x0
	.amdhsa_kernel _ZN9rocsparseL26kernel_add_scaled_residualILj1024EldEEvT0_PKT1_PS2_S4_
		.amdhsa_group_segment_fixed_size 0
		.amdhsa_private_segment_fixed_size 0
		.amdhsa_kernarg_size 32
		.amdhsa_user_sgpr_count 2
		.amdhsa_user_sgpr_dispatch_ptr 0
		.amdhsa_user_sgpr_queue_ptr 0
		.amdhsa_user_sgpr_kernarg_segment_ptr 1
		.amdhsa_user_sgpr_dispatch_id 0
		.amdhsa_user_sgpr_kernarg_preload_length 0
		.amdhsa_user_sgpr_kernarg_preload_offset 0
		.amdhsa_user_sgpr_private_segment_size 0
		.amdhsa_wavefront_size32 1
		.amdhsa_uses_dynamic_stack 0
		.amdhsa_enable_private_segment 0
		.amdhsa_system_sgpr_workgroup_id_x 1
		.amdhsa_system_sgpr_workgroup_id_y 0
		.amdhsa_system_sgpr_workgroup_id_z 0
		.amdhsa_system_sgpr_workgroup_info 0
		.amdhsa_system_vgpr_workitem_id 0
		.amdhsa_next_free_vgpr 12
		.amdhsa_next_free_sgpr 8
		.amdhsa_named_barrier_count 0
		.amdhsa_reserve_vcc 1
		.amdhsa_float_round_mode_32 0
		.amdhsa_float_round_mode_16_64 0
		.amdhsa_float_denorm_mode_32 3
		.amdhsa_float_denorm_mode_16_64 3
		.amdhsa_fp16_overflow 0
		.amdhsa_memory_ordered 1
		.amdhsa_forward_progress 1
		.amdhsa_inst_pref_size 2
		.amdhsa_round_robin_scheduling 0
		.amdhsa_exception_fp_ieee_invalid_op 0
		.amdhsa_exception_fp_denorm_src 0
		.amdhsa_exception_fp_ieee_div_zero 0
		.amdhsa_exception_fp_ieee_overflow 0
		.amdhsa_exception_fp_ieee_underflow 0
		.amdhsa_exception_fp_ieee_inexact 0
		.amdhsa_exception_int_div_zero 0
	.end_amdhsa_kernel
	.section	.text._ZN9rocsparseL26kernel_add_scaled_residualILj1024EldEEvT0_PKT1_PS2_S4_,"axG",@progbits,_ZN9rocsparseL26kernel_add_scaled_residualILj1024EldEEvT0_PKT1_PS2_S4_,comdat
.Lfunc_end25:
	.size	_ZN9rocsparseL26kernel_add_scaled_residualILj1024EldEEvT0_PKT1_PS2_S4_, .Lfunc_end25-_ZN9rocsparseL26kernel_add_scaled_residualILj1024EldEEvT0_PKT1_PS2_S4_
                                        ; -- End function
	.set _ZN9rocsparseL26kernel_add_scaled_residualILj1024EldEEvT0_PKT1_PS2_S4_.num_vgpr, 12
	.set _ZN9rocsparseL26kernel_add_scaled_residualILj1024EldEEvT0_PKT1_PS2_S4_.num_agpr, 0
	.set _ZN9rocsparseL26kernel_add_scaled_residualILj1024EldEEvT0_PKT1_PS2_S4_.numbered_sgpr, 8
	.set _ZN9rocsparseL26kernel_add_scaled_residualILj1024EldEEvT0_PKT1_PS2_S4_.num_named_barrier, 0
	.set _ZN9rocsparseL26kernel_add_scaled_residualILj1024EldEEvT0_PKT1_PS2_S4_.private_seg_size, 0
	.set _ZN9rocsparseL26kernel_add_scaled_residualILj1024EldEEvT0_PKT1_PS2_S4_.uses_vcc, 1
	.set _ZN9rocsparseL26kernel_add_scaled_residualILj1024EldEEvT0_PKT1_PS2_S4_.uses_flat_scratch, 0
	.set _ZN9rocsparseL26kernel_add_scaled_residualILj1024EldEEvT0_PKT1_PS2_S4_.has_dyn_sized_stack, 0
	.set _ZN9rocsparseL26kernel_add_scaled_residualILj1024EldEEvT0_PKT1_PS2_S4_.has_recursion, 0
	.set _ZN9rocsparseL26kernel_add_scaled_residualILj1024EldEEvT0_PKT1_PS2_S4_.has_indirect_call, 0
	.section	.AMDGPU.csdata,"",@progbits
; Kernel info:
; codeLenInByte = 180
; TotalNumSgprs: 10
; NumVgprs: 12
; ScratchSize: 0
; MemoryBound: 1
; FloatMode: 240
; IeeeMode: 1
; LDSByteSize: 0 bytes/workgroup (compile time only)
; SGPRBlocks: 0
; VGPRBlocks: 0
; NumSGPRsForWavesPerEU: 10
; NumVGPRsForWavesPerEU: 12
; NamedBarCnt: 0
; Occupancy: 16
; WaveLimiterHint : 0
; COMPUTE_PGM_RSRC2:SCRATCH_EN: 0
; COMPUTE_PGM_RSRC2:USER_SGPR: 2
; COMPUTE_PGM_RSRC2:TRAP_HANDLER: 0
; COMPUTE_PGM_RSRC2:TGID_X_EN: 1
; COMPUTE_PGM_RSRC2:TGID_Y_EN: 0
; COMPUTE_PGM_RSRC2:TGID_Z_EN: 0
; COMPUTE_PGM_RSRC2:TIDIG_COMP_CNT: 0
	.section	.text._ZN12_GLOBAL__N_129calculator_inverse_diagonal_tI21rocsparse_complex_numIfEllE23kernel_inverse_diagonalILj1024ELb0EEEvlPKlPKS2_21rocsparse_index_base_PS2_S6_lS9_Pi,"axG",@progbits,_ZN12_GLOBAL__N_129calculator_inverse_diagonal_tI21rocsparse_complex_numIfEllE23kernel_inverse_diagonalILj1024ELb0EEEvlPKlPKS2_21rocsparse_index_base_PS2_S6_lS9_Pi,comdat
	.globl	_ZN12_GLOBAL__N_129calculator_inverse_diagonal_tI21rocsparse_complex_numIfEllE23kernel_inverse_diagonalILj1024ELb0EEEvlPKlPKS2_21rocsparse_index_base_PS2_S6_lS9_Pi ; -- Begin function _ZN12_GLOBAL__N_129calculator_inverse_diagonal_tI21rocsparse_complex_numIfEllE23kernel_inverse_diagonalILj1024ELb0EEEvlPKlPKS2_21rocsparse_index_base_PS2_S6_lS9_Pi
	.p2align	8
	.type	_ZN12_GLOBAL__N_129calculator_inverse_diagonal_tI21rocsparse_complex_numIfEllE23kernel_inverse_diagonalILj1024ELb0EEEvlPKlPKS2_21rocsparse_index_base_PS2_S6_lS9_Pi,@function
_ZN12_GLOBAL__N_129calculator_inverse_diagonal_tI21rocsparse_complex_numIfEllE23kernel_inverse_diagonalILj1024ELb0EEEvlPKlPKS2_21rocsparse_index_base_PS2_S6_lS9_Pi: ; @_ZN12_GLOBAL__N_129calculator_inverse_diagonal_tI21rocsparse_complex_numIfEllE23kernel_inverse_diagonalILj1024ELb0EEEvlPKlPKS2_21rocsparse_index_base_PS2_S6_lS9_Pi
; %bb.0:
	s_load_b64 s[2:3], s[0:1], 0x0
	s_bfe_u32 s4, ttmp6, 0x4000c
	s_and_b32 s5, ttmp6, 15
	s_add_co_i32 s4, s4, 1
	s_getreg_b32 s6, hwreg(HW_REG_IB_STS2, 6, 4)
	s_mul_i32 s4, ttmp9, s4
	v_mov_b32_e32 v1, 0
	s_add_co_i32 s5, s5, s4
	s_cmp_eq_u32 s6, 0
	s_mov_b32 s9, 0
	s_cselect_b32 s4, ttmp9, s5
	s_delay_alu instid0(SALU_CYCLE_1) | instskip(SKIP_1) | instid1(VALU_DEP_1)
	v_lshl_or_b32 v0, s4, 10, v0
	s_wait_kmcnt 0x0
	v_cmp_gt_i64_e32 vcc_lo, s[2:3], v[0:1]
	s_and_saveexec_b32 s2, vcc_lo
	s_cbranch_execz .LBB26_16
; %bb.1:
	s_clause 0x3
	s_load_b128 s[4:7], s[0:1], 0x20
	s_load_b96 s[12:14], s[0:1], 0x30
	s_load_b64 s[2:3], s[0:1], 0x8
	s_load_b32 s8, s[0:1], 0x18
	s_wait_kmcnt 0x0
	v_lshl_add_u64 v[2:3], v[0:1], 3, s[6:7]
	s_mov_b32 s6, s14
	s_mov_b32 s7, s9
	global_load_b64 v[2:3], v[2:3], off
	s_wait_loadcnt 0x0
	v_sub_nc_u64_e64 v[2:3], v[2:3], s[6:7]
	s_mov_b32 s6, exec_lo
	s_delay_alu instid0(VALU_DEP_1) | instskip(NEXT) | instid1(VALU_DEP_1)
	v_add_nc_u64_e32 v[2:3], s[12:13], v[2:3]
	v_lshl_add_u64 v[4:5], v[2:3], 3, s[2:3]
	s_load_b64 s[2:3], s[0:1], 0x40
	global_load_b64 v[4:5], v[4:5], off
	s_wait_loadcnt 0x0
	v_sub_nc_u64_e64 v[4:5], v[4:5], s[8:9]
	s_delay_alu instid0(VALU_DEP_1)
	v_cmpx_ne_u64_e64 v[4:5], v[0:1]
	s_xor_b32 s6, exec_lo, s6
	s_cbranch_execz .LBB26_7
; %bb.2:
	v_add_nc_u32_e32 v2, s8, v0
	s_mov_b32 s9, exec_lo
	s_brev_b32 s7, -2
.LBB26_3:                               ; =>This Inner Loop Header: Depth=1
	s_ctz_i32_b32 s10, s9
	s_delay_alu instid0(VALU_DEP_1) | instid1(SALU_CYCLE_1)
	v_readlane_b32 s11, v2, s10
	s_lshl_b32 s10, 1, s10
	s_delay_alu instid0(SALU_CYCLE_1)
	s_and_not1_b32 s9, s9, s10
	s_min_i32 s7, s7, s11
	s_cmp_lg_u32 s9, 0
	s_cbranch_scc1 .LBB26_3
; %bb.4:
	v_mbcnt_lo_u32_b32 v2, exec_lo, 0
	s_mov_b32 s9, exec_lo
	s_delay_alu instid0(VALU_DEP_1)
	v_cmpx_eq_u32_e32 0, v2
	s_xor_b32 s9, exec_lo, s9
	s_cbranch_execz .LBB26_6
; %bb.5:
	v_dual_mov_b32 v2, 0 :: v_dual_mov_b32 v3, s7
	s_wait_kmcnt 0x0
	global_atomic_min_i32 v2, v3, s[2:3] scope:SCOPE_DEV
.LBB26_6:
	s_wait_xcnt 0x0
	s_or_b32 exec_lo, exec_lo, s9
	v_mov_b64_e32 v[2:3], 0x3f800000
	v_lshl_add_u64 v[0:1], v[0:1], 3, s[4:5]
	global_store_b64 v[0:1], v[2:3], off
                                        ; implicit-def: $vgpr0_vgpr1
                                        ; implicit-def: $vgpr2_vgpr3
.LBB26_7:
	s_wait_xcnt 0x0
	s_and_not1_saveexec_b32 s6, s6
	s_cbranch_execz .LBB26_16
; %bb.8:
	s_load_b64 s[0:1], s[0:1], 0x10
	s_wait_kmcnt 0x0
	v_lshl_add_u64 v[2:3], v[2:3], 3, s[0:1]
	global_load_b64 v[2:3], v[2:3], off
	s_wait_loadcnt 0x0
	v_cmp_eq_f32_e32 vcc_lo, 0, v2
	v_cmp_eq_f32_e64 s0, 0, v3
	s_and_b32 s0, vcc_lo, s0
	s_wait_xcnt 0x0
	s_and_saveexec_b32 s1, s0
	s_delay_alu instid0(SALU_CYCLE_1)
	s_xor_b32 s0, exec_lo, s1
	s_cbranch_execz .LBB26_14
; %bb.9:
	v_add_nc_u32_e32 v2, s8, v0
	s_mov_b32 s6, exec_lo
	s_brev_b32 s1, -2
.LBB26_10:                              ; =>This Inner Loop Header: Depth=1
	s_ctz_i32_b32 s7, s6
	s_delay_alu instid0(VALU_DEP_1) | instid1(SALU_CYCLE_1)
	v_readlane_b32 s8, v2, s7
	s_lshl_b32 s7, 1, s7
	s_delay_alu instid0(SALU_CYCLE_1)
	s_and_not1_b32 s6, s6, s7
	s_min_i32 s1, s1, s8
	s_cmp_lg_u32 s6, 0
	s_cbranch_scc1 .LBB26_10
; %bb.11:
	v_mbcnt_lo_u32_b32 v2, exec_lo, 0
	s_mov_b32 s6, exec_lo
	s_delay_alu instid0(VALU_DEP_1)
	v_cmpx_eq_u32_e32 0, v2
	s_xor_b32 s6, exec_lo, s6
	s_cbranch_execz .LBB26_13
; %bb.12:
	v_dual_mov_b32 v2, 0 :: v_dual_mov_b32 v3, s1
	global_atomic_min_i32 v2, v3, s[2:3] scope:SCOPE_DEV
.LBB26_13:
	s_wait_xcnt 0x0
	s_or_b32 exec_lo, exec_lo, s6
	v_mov_b64_e32 v[2:3], 0x3f800000
	v_lshl_add_u64 v[0:1], v[0:1], 3, s[4:5]
	global_store_b64 v[0:1], v[2:3], off
                                        ; implicit-def: $vgpr2_vgpr3
                                        ; implicit-def: $vgpr0_vgpr1
.LBB26_14:
	s_wait_xcnt 0x0
	s_and_not1_saveexec_b32 s0, s0
	s_cbranch_execz .LBB26_16
; %bb.15:
	v_mul_f32_e32 v5, v3, v3
	v_lshl_add_u64 v[0:1], v[0:1], 3, s[4:5]
	s_delay_alu instid0(VALU_DEP_2) | instskip(NEXT) | instid1(VALU_DEP_1)
	v_fmac_f32_e32 v5, v2, v2
	v_div_scale_f32 v4, null, v5, v5, 1.0
	v_div_scale_f32 v8, vcc_lo, 1.0, v5, 1.0
	s_delay_alu instid0(VALU_DEP_2) | instskip(SKIP_1) | instid1(TRANS32_DEP_1)
	v_rcp_f32_e32 v6, v4
	v_nop
	v_fma_f32 v7, -v4, v6, 1.0
	s_delay_alu instid0(VALU_DEP_1) | instskip(NEXT) | instid1(VALU_DEP_1)
	v_fmac_f32_e32 v6, v7, v6
	v_mul_f32_e32 v7, v8, v6
	s_delay_alu instid0(VALU_DEP_1) | instskip(NEXT) | instid1(VALU_DEP_1)
	v_fma_f32 v9, -v4, v7, v8
	v_fmac_f32_e32 v7, v9, v6
	s_delay_alu instid0(VALU_DEP_1) | instskip(NEXT) | instid1(VALU_DEP_1)
	v_fma_f32 v4, -v4, v7, v8
	v_div_fmas_f32 v6, v4, v6, v7
	v_fma_f32 v4, 0, v3, v2
	s_delay_alu instid0(VALU_DEP_2) | instskip(SKIP_1) | instid1(VALU_DEP_1)
	v_div_fixup_f32 v6, v6, v5, 1.0
	v_fma_f32 v5, v2, 0, -v3
	v_pk_mul_f32 v[2:3], v[4:5], v[6:7] op_sel_hi:[1,0]
	global_store_b64 v[0:1], v[2:3], off
.LBB26_16:
	s_endpgm
	.section	.rodata,"a",@progbits
	.p2align	6, 0x0
	.amdhsa_kernel _ZN12_GLOBAL__N_129calculator_inverse_diagonal_tI21rocsparse_complex_numIfEllE23kernel_inverse_diagonalILj1024ELb0EEEvlPKlPKS2_21rocsparse_index_base_PS2_S6_lS9_Pi
		.amdhsa_group_segment_fixed_size 0
		.amdhsa_private_segment_fixed_size 0
		.amdhsa_kernarg_size 72
		.amdhsa_user_sgpr_count 2
		.amdhsa_user_sgpr_dispatch_ptr 0
		.amdhsa_user_sgpr_queue_ptr 0
		.amdhsa_user_sgpr_kernarg_segment_ptr 1
		.amdhsa_user_sgpr_dispatch_id 0
		.amdhsa_user_sgpr_kernarg_preload_length 0
		.amdhsa_user_sgpr_kernarg_preload_offset 0
		.amdhsa_user_sgpr_private_segment_size 0
		.amdhsa_wavefront_size32 1
		.amdhsa_uses_dynamic_stack 0
		.amdhsa_enable_private_segment 0
		.amdhsa_system_sgpr_workgroup_id_x 1
		.amdhsa_system_sgpr_workgroup_id_y 0
		.amdhsa_system_sgpr_workgroup_id_z 0
		.amdhsa_system_sgpr_workgroup_info 0
		.amdhsa_system_vgpr_workitem_id 0
		.amdhsa_next_free_vgpr 10
		.amdhsa_next_free_sgpr 15
		.amdhsa_named_barrier_count 0
		.amdhsa_reserve_vcc 1
		.amdhsa_float_round_mode_32 0
		.amdhsa_float_round_mode_16_64 0
		.amdhsa_float_denorm_mode_32 3
		.amdhsa_float_denorm_mode_16_64 3
		.amdhsa_fp16_overflow 0
		.amdhsa_memory_ordered 1
		.amdhsa_forward_progress 1
		.amdhsa_inst_pref_size 6
		.amdhsa_round_robin_scheduling 0
		.amdhsa_exception_fp_ieee_invalid_op 0
		.amdhsa_exception_fp_denorm_src 0
		.amdhsa_exception_fp_ieee_div_zero 0
		.amdhsa_exception_fp_ieee_overflow 0
		.amdhsa_exception_fp_ieee_underflow 0
		.amdhsa_exception_fp_ieee_inexact 0
		.amdhsa_exception_int_div_zero 0
	.end_amdhsa_kernel
	.section	.text._ZN12_GLOBAL__N_129calculator_inverse_diagonal_tI21rocsparse_complex_numIfEllE23kernel_inverse_diagonalILj1024ELb0EEEvlPKlPKS2_21rocsparse_index_base_PS2_S6_lS9_Pi,"axG",@progbits,_ZN12_GLOBAL__N_129calculator_inverse_diagonal_tI21rocsparse_complex_numIfEllE23kernel_inverse_diagonalILj1024ELb0EEEvlPKlPKS2_21rocsparse_index_base_PS2_S6_lS9_Pi,comdat
.Lfunc_end26:
	.size	_ZN12_GLOBAL__N_129calculator_inverse_diagonal_tI21rocsparse_complex_numIfEllE23kernel_inverse_diagonalILj1024ELb0EEEvlPKlPKS2_21rocsparse_index_base_PS2_S6_lS9_Pi, .Lfunc_end26-_ZN12_GLOBAL__N_129calculator_inverse_diagonal_tI21rocsparse_complex_numIfEllE23kernel_inverse_diagonalILj1024ELb0EEEvlPKlPKS2_21rocsparse_index_base_PS2_S6_lS9_Pi
                                        ; -- End function
	.set _ZN12_GLOBAL__N_129calculator_inverse_diagonal_tI21rocsparse_complex_numIfEllE23kernel_inverse_diagonalILj1024ELb0EEEvlPKlPKS2_21rocsparse_index_base_PS2_S6_lS9_Pi.num_vgpr, 10
	.set _ZN12_GLOBAL__N_129calculator_inverse_diagonal_tI21rocsparse_complex_numIfEllE23kernel_inverse_diagonalILj1024ELb0EEEvlPKlPKS2_21rocsparse_index_base_PS2_S6_lS9_Pi.num_agpr, 0
	.set _ZN12_GLOBAL__N_129calculator_inverse_diagonal_tI21rocsparse_complex_numIfEllE23kernel_inverse_diagonalILj1024ELb0EEEvlPKlPKS2_21rocsparse_index_base_PS2_S6_lS9_Pi.numbered_sgpr, 15
	.set _ZN12_GLOBAL__N_129calculator_inverse_diagonal_tI21rocsparse_complex_numIfEllE23kernel_inverse_diagonalILj1024ELb0EEEvlPKlPKS2_21rocsparse_index_base_PS2_S6_lS9_Pi.num_named_barrier, 0
	.set _ZN12_GLOBAL__N_129calculator_inverse_diagonal_tI21rocsparse_complex_numIfEllE23kernel_inverse_diagonalILj1024ELb0EEEvlPKlPKS2_21rocsparse_index_base_PS2_S6_lS9_Pi.private_seg_size, 0
	.set _ZN12_GLOBAL__N_129calculator_inverse_diagonal_tI21rocsparse_complex_numIfEllE23kernel_inverse_diagonalILj1024ELb0EEEvlPKlPKS2_21rocsparse_index_base_PS2_S6_lS9_Pi.uses_vcc, 1
	.set _ZN12_GLOBAL__N_129calculator_inverse_diagonal_tI21rocsparse_complex_numIfEllE23kernel_inverse_diagonalILj1024ELb0EEEvlPKlPKS2_21rocsparse_index_base_PS2_S6_lS9_Pi.uses_flat_scratch, 0
	.set _ZN12_GLOBAL__N_129calculator_inverse_diagonal_tI21rocsparse_complex_numIfEllE23kernel_inverse_diagonalILj1024ELb0EEEvlPKlPKS2_21rocsparse_index_base_PS2_S6_lS9_Pi.has_dyn_sized_stack, 0
	.set _ZN12_GLOBAL__N_129calculator_inverse_diagonal_tI21rocsparse_complex_numIfEllE23kernel_inverse_diagonalILj1024ELb0EEEvlPKlPKS2_21rocsparse_index_base_PS2_S6_lS9_Pi.has_recursion, 0
	.set _ZN12_GLOBAL__N_129calculator_inverse_diagonal_tI21rocsparse_complex_numIfEllE23kernel_inverse_diagonalILj1024ELb0EEEvlPKlPKS2_21rocsparse_index_base_PS2_S6_lS9_Pi.has_indirect_call, 0
	.section	.AMDGPU.csdata,"",@progbits
; Kernel info:
; codeLenInByte = 760
; TotalNumSgprs: 17
; NumVgprs: 10
; ScratchSize: 0
; MemoryBound: 0
; FloatMode: 240
; IeeeMode: 1
; LDSByteSize: 0 bytes/workgroup (compile time only)
; SGPRBlocks: 0
; VGPRBlocks: 0
; NumSGPRsForWavesPerEU: 17
; NumVGPRsForWavesPerEU: 10
; NamedBarCnt: 0
; Occupancy: 16
; WaveLimiterHint : 1
; COMPUTE_PGM_RSRC2:SCRATCH_EN: 0
; COMPUTE_PGM_RSRC2:USER_SGPR: 2
; COMPUTE_PGM_RSRC2:TRAP_HANDLER: 0
; COMPUTE_PGM_RSRC2:TGID_X_EN: 1
; COMPUTE_PGM_RSRC2:TGID_Y_EN: 0
; COMPUTE_PGM_RSRC2:TGID_Z_EN: 0
; COMPUTE_PGM_RSRC2:TIDIG_COMP_CNT: 0
	.section	.text._ZN12_GLOBAL__N_129calculator_inverse_diagonal_tI21rocsparse_complex_numIfEllE23kernel_inverse_diagonalILj1024ELb1EEEvlPKlPKS2_21rocsparse_index_base_PS2_S6_lS9_Pi,"axG",@progbits,_ZN12_GLOBAL__N_129calculator_inverse_diagonal_tI21rocsparse_complex_numIfEllE23kernel_inverse_diagonalILj1024ELb1EEEvlPKlPKS2_21rocsparse_index_base_PS2_S6_lS9_Pi,comdat
	.globl	_ZN12_GLOBAL__N_129calculator_inverse_diagonal_tI21rocsparse_complex_numIfEllE23kernel_inverse_diagonalILj1024ELb1EEEvlPKlPKS2_21rocsparse_index_base_PS2_S6_lS9_Pi ; -- Begin function _ZN12_GLOBAL__N_129calculator_inverse_diagonal_tI21rocsparse_complex_numIfEllE23kernel_inverse_diagonalILj1024ELb1EEEvlPKlPKS2_21rocsparse_index_base_PS2_S6_lS9_Pi
	.p2align	8
	.type	_ZN12_GLOBAL__N_129calculator_inverse_diagonal_tI21rocsparse_complex_numIfEllE23kernel_inverse_diagonalILj1024ELb1EEEvlPKlPKS2_21rocsparse_index_base_PS2_S6_lS9_Pi,@function
_ZN12_GLOBAL__N_129calculator_inverse_diagonal_tI21rocsparse_complex_numIfEllE23kernel_inverse_diagonalILj1024ELb1EEEvlPKlPKS2_21rocsparse_index_base_PS2_S6_lS9_Pi: ; @_ZN12_GLOBAL__N_129calculator_inverse_diagonal_tI21rocsparse_complex_numIfEllE23kernel_inverse_diagonalILj1024ELb1EEEvlPKlPKS2_21rocsparse_index_base_PS2_S6_lS9_Pi
; %bb.0:
	s_load_b64 s[2:3], s[0:1], 0x0
	s_bfe_u32 s4, ttmp6, 0x4000c
	s_and_b32 s5, ttmp6, 15
	s_add_co_i32 s4, s4, 1
	s_getreg_b32 s6, hwreg(HW_REG_IB_STS2, 6, 4)
	s_mul_i32 s4, ttmp9, s4
	v_mov_b32_e32 v1, 0
	s_add_co_i32 s5, s5, s4
	s_cmp_eq_u32 s6, 0
	s_mov_b32 s9, 0
	s_cselect_b32 s4, ttmp9, s5
	s_delay_alu instid0(SALU_CYCLE_1) | instskip(SKIP_1) | instid1(VALU_DEP_1)
	v_lshl_or_b32 v0, s4, 10, v0
	s_wait_kmcnt 0x0
	v_cmp_gt_i64_e32 vcc_lo, s[2:3], v[0:1]
	s_and_saveexec_b32 s2, vcc_lo
	s_cbranch_execz .LBB27_16
; %bb.1:
	s_clause 0x3
	s_load_b128 s[4:7], s[0:1], 0x20
	s_load_b96 s[12:14], s[0:1], 0x30
	s_load_b64 s[2:3], s[0:1], 0x8
	s_load_b32 s8, s[0:1], 0x18
	s_wait_kmcnt 0x0
	v_lshl_add_u64 v[2:3], v[0:1], 3, s[6:7]
	s_mov_b32 s6, s14
	s_mov_b32 s7, s9
	global_load_b64 v[2:3], v[2:3], off
	s_wait_loadcnt 0x0
	v_sub_nc_u64_e64 v[2:3], v[2:3], s[6:7]
	s_mov_b32 s6, exec_lo
	s_delay_alu instid0(VALU_DEP_1) | instskip(NEXT) | instid1(VALU_DEP_1)
	v_add_nc_u64_e32 v[2:3], s[12:13], v[2:3]
	v_lshl_add_u64 v[4:5], v[2:3], 3, s[2:3]
	s_load_b64 s[2:3], s[0:1], 0x40
	global_load_b64 v[4:5], v[4:5], off
	s_wait_loadcnt 0x0
	v_sub_nc_u64_e64 v[4:5], v[4:5], s[8:9]
	s_delay_alu instid0(VALU_DEP_1)
	v_cmpx_ne_u64_e64 v[4:5], v[0:1]
	s_xor_b32 s6, exec_lo, s6
	s_cbranch_execz .LBB27_7
; %bb.2:
	v_add_nc_u32_e32 v2, s8, v0
	s_mov_b32 s9, exec_lo
	s_brev_b32 s7, -2
.LBB27_3:                               ; =>This Inner Loop Header: Depth=1
	s_ctz_i32_b32 s10, s9
	s_delay_alu instid0(VALU_DEP_1) | instid1(SALU_CYCLE_1)
	v_readlane_b32 s11, v2, s10
	s_lshl_b32 s10, 1, s10
	s_delay_alu instid0(SALU_CYCLE_1)
	s_and_not1_b32 s9, s9, s10
	s_min_i32 s7, s7, s11
	s_cmp_lg_u32 s9, 0
	s_cbranch_scc1 .LBB27_3
; %bb.4:
	v_mbcnt_lo_u32_b32 v2, exec_lo, 0
	s_mov_b32 s9, exec_lo
	s_delay_alu instid0(VALU_DEP_1)
	v_cmpx_eq_u32_e32 0, v2
	s_xor_b32 s9, exec_lo, s9
	s_cbranch_execz .LBB27_6
; %bb.5:
	v_dual_mov_b32 v2, 0 :: v_dual_mov_b32 v3, s7
	s_wait_kmcnt 0x0
	global_atomic_min_i32 v2, v3, s[2:3] scope:SCOPE_DEV
.LBB27_6:
	s_wait_xcnt 0x0
	s_or_b32 exec_lo, exec_lo, s9
	v_mov_b64_e32 v[2:3], 0x3f800000
	v_lshl_add_u64 v[0:1], v[0:1], 3, s[4:5]
	global_store_b64 v[0:1], v[2:3], off
                                        ; implicit-def: $vgpr0_vgpr1
                                        ; implicit-def: $vgpr2_vgpr3
.LBB27_7:
	s_wait_xcnt 0x0
	s_and_not1_saveexec_b32 s6, s6
	s_cbranch_execz .LBB27_16
; %bb.8:
	s_load_b64 s[0:1], s[0:1], 0x10
	s_wait_kmcnt 0x0
	v_lshl_add_u64 v[2:3], v[2:3], 3, s[0:1]
	global_load_b64 v[2:3], v[2:3], off
	s_wait_loadcnt 0x0
	v_cmp_eq_f32_e32 vcc_lo, 0, v2
	v_cmp_eq_f32_e64 s0, 0, v3
	s_and_b32 s0, vcc_lo, s0
	s_wait_xcnt 0x0
	s_and_saveexec_b32 s1, s0
	s_delay_alu instid0(SALU_CYCLE_1)
	s_xor_b32 s0, exec_lo, s1
	s_cbranch_execz .LBB27_14
; %bb.9:
	v_add_nc_u32_e32 v2, s8, v0
	s_mov_b32 s6, exec_lo
	s_brev_b32 s1, -2
.LBB27_10:                              ; =>This Inner Loop Header: Depth=1
	s_ctz_i32_b32 s7, s6
	s_delay_alu instid0(VALU_DEP_1) | instid1(SALU_CYCLE_1)
	v_readlane_b32 s8, v2, s7
	s_lshl_b32 s7, 1, s7
	s_delay_alu instid0(SALU_CYCLE_1)
	s_and_not1_b32 s6, s6, s7
	s_min_i32 s1, s1, s8
	s_cmp_lg_u32 s6, 0
	s_cbranch_scc1 .LBB27_10
; %bb.11:
	v_mbcnt_lo_u32_b32 v2, exec_lo, 0
	s_mov_b32 s6, exec_lo
	s_delay_alu instid0(VALU_DEP_1)
	v_cmpx_eq_u32_e32 0, v2
	s_xor_b32 s6, exec_lo, s6
	s_cbranch_execz .LBB27_13
; %bb.12:
	v_dual_mov_b32 v2, 0 :: v_dual_mov_b32 v3, s1
	global_atomic_min_i32 v2, v3, s[2:3] scope:SCOPE_DEV
.LBB27_13:
	s_wait_xcnt 0x0
	s_or_b32 exec_lo, exec_lo, s6
	v_mov_b64_e32 v[2:3], 0x3f800000
	v_lshl_add_u64 v[0:1], v[0:1], 3, s[4:5]
	global_store_b64 v[0:1], v[2:3], off
                                        ; implicit-def: $vgpr2_vgpr3
                                        ; implicit-def: $vgpr0_vgpr1
.LBB27_14:
	s_wait_xcnt 0x0
	s_and_not1_saveexec_b32 s0, s0
	s_cbranch_execz .LBB27_16
; %bb.15:
	v_mul_f32_e32 v5, v3, v3
	v_lshl_add_u64 v[0:1], v[0:1], 3, s[4:5]
	s_delay_alu instid0(VALU_DEP_2) | instskip(NEXT) | instid1(VALU_DEP_1)
	v_fmac_f32_e32 v5, v2, v2
	v_div_scale_f32 v4, null, v5, v5, 1.0
	v_div_scale_f32 v8, vcc_lo, 1.0, v5, 1.0
	s_delay_alu instid0(VALU_DEP_2) | instskip(SKIP_1) | instid1(TRANS32_DEP_1)
	v_rcp_f32_e32 v6, v4
	v_nop
	v_fma_f32 v7, -v4, v6, 1.0
	s_delay_alu instid0(VALU_DEP_1) | instskip(NEXT) | instid1(VALU_DEP_1)
	v_fmac_f32_e32 v6, v7, v6
	v_mul_f32_e32 v7, v8, v6
	s_delay_alu instid0(VALU_DEP_1) | instskip(NEXT) | instid1(VALU_DEP_1)
	v_fma_f32 v9, -v4, v7, v8
	v_fmac_f32_e32 v7, v9, v6
	s_delay_alu instid0(VALU_DEP_1) | instskip(SKIP_1) | instid1(VALU_DEP_2)
	v_fma_f32 v8, -v4, v7, v8
	v_dual_fmamk_f32 v4, v3, 0x80000000, v2 :: v_dual_fmac_f32 v3, 0, v2
	v_div_fmas_f32 v6, v8, v6, v7
	s_delay_alu instid0(VALU_DEP_1) | instskip(NEXT) | instid1(VALU_DEP_3)
	v_div_fixup_f32 v2, v6, v5, 1.0
	v_mov_b32_e32 v5, v3
	s_delay_alu instid0(VALU_DEP_1)
	v_pk_mul_f32 v[2:3], v[4:5], v[2:3] op_sel_hi:[1,0]
	global_store_b64 v[0:1], v[2:3], off
.LBB27_16:
	s_endpgm
	.section	.rodata,"a",@progbits
	.p2align	6, 0x0
	.amdhsa_kernel _ZN12_GLOBAL__N_129calculator_inverse_diagonal_tI21rocsparse_complex_numIfEllE23kernel_inverse_diagonalILj1024ELb1EEEvlPKlPKS2_21rocsparse_index_base_PS2_S6_lS9_Pi
		.amdhsa_group_segment_fixed_size 0
		.amdhsa_private_segment_fixed_size 0
		.amdhsa_kernarg_size 72
		.amdhsa_user_sgpr_count 2
		.amdhsa_user_sgpr_dispatch_ptr 0
		.amdhsa_user_sgpr_queue_ptr 0
		.amdhsa_user_sgpr_kernarg_segment_ptr 1
		.amdhsa_user_sgpr_dispatch_id 0
		.amdhsa_user_sgpr_kernarg_preload_length 0
		.amdhsa_user_sgpr_kernarg_preload_offset 0
		.amdhsa_user_sgpr_private_segment_size 0
		.amdhsa_wavefront_size32 1
		.amdhsa_uses_dynamic_stack 0
		.amdhsa_enable_private_segment 0
		.amdhsa_system_sgpr_workgroup_id_x 1
		.amdhsa_system_sgpr_workgroup_id_y 0
		.amdhsa_system_sgpr_workgroup_id_z 0
		.amdhsa_system_sgpr_workgroup_info 0
		.amdhsa_system_vgpr_workitem_id 0
		.amdhsa_next_free_vgpr 10
		.amdhsa_next_free_sgpr 15
		.amdhsa_named_barrier_count 0
		.amdhsa_reserve_vcc 1
		.amdhsa_float_round_mode_32 0
		.amdhsa_float_round_mode_16_64 0
		.amdhsa_float_denorm_mode_32 3
		.amdhsa_float_denorm_mode_16_64 3
		.amdhsa_fp16_overflow 0
		.amdhsa_memory_ordered 1
		.amdhsa_forward_progress 1
		.amdhsa_inst_pref_size 6
		.amdhsa_round_robin_scheduling 0
		.amdhsa_exception_fp_ieee_invalid_op 0
		.amdhsa_exception_fp_denorm_src 0
		.amdhsa_exception_fp_ieee_div_zero 0
		.amdhsa_exception_fp_ieee_overflow 0
		.amdhsa_exception_fp_ieee_underflow 0
		.amdhsa_exception_fp_ieee_inexact 0
		.amdhsa_exception_int_div_zero 0
	.end_amdhsa_kernel
	.section	.text._ZN12_GLOBAL__N_129calculator_inverse_diagonal_tI21rocsparse_complex_numIfEllE23kernel_inverse_diagonalILj1024ELb1EEEvlPKlPKS2_21rocsparse_index_base_PS2_S6_lS9_Pi,"axG",@progbits,_ZN12_GLOBAL__N_129calculator_inverse_diagonal_tI21rocsparse_complex_numIfEllE23kernel_inverse_diagonalILj1024ELb1EEEvlPKlPKS2_21rocsparse_index_base_PS2_S6_lS9_Pi,comdat
.Lfunc_end27:
	.size	_ZN12_GLOBAL__N_129calculator_inverse_diagonal_tI21rocsparse_complex_numIfEllE23kernel_inverse_diagonalILj1024ELb1EEEvlPKlPKS2_21rocsparse_index_base_PS2_S6_lS9_Pi, .Lfunc_end27-_ZN12_GLOBAL__N_129calculator_inverse_diagonal_tI21rocsparse_complex_numIfEllE23kernel_inverse_diagonalILj1024ELb1EEEvlPKlPKS2_21rocsparse_index_base_PS2_S6_lS9_Pi
                                        ; -- End function
	.set _ZN12_GLOBAL__N_129calculator_inverse_diagonal_tI21rocsparse_complex_numIfEllE23kernel_inverse_diagonalILj1024ELb1EEEvlPKlPKS2_21rocsparse_index_base_PS2_S6_lS9_Pi.num_vgpr, 10
	.set _ZN12_GLOBAL__N_129calculator_inverse_diagonal_tI21rocsparse_complex_numIfEllE23kernel_inverse_diagonalILj1024ELb1EEEvlPKlPKS2_21rocsparse_index_base_PS2_S6_lS9_Pi.num_agpr, 0
	.set _ZN12_GLOBAL__N_129calculator_inverse_diagonal_tI21rocsparse_complex_numIfEllE23kernel_inverse_diagonalILj1024ELb1EEEvlPKlPKS2_21rocsparse_index_base_PS2_S6_lS9_Pi.numbered_sgpr, 15
	.set _ZN12_GLOBAL__N_129calculator_inverse_diagonal_tI21rocsparse_complex_numIfEllE23kernel_inverse_diagonalILj1024ELb1EEEvlPKlPKS2_21rocsparse_index_base_PS2_S6_lS9_Pi.num_named_barrier, 0
	.set _ZN12_GLOBAL__N_129calculator_inverse_diagonal_tI21rocsparse_complex_numIfEllE23kernel_inverse_diagonalILj1024ELb1EEEvlPKlPKS2_21rocsparse_index_base_PS2_S6_lS9_Pi.private_seg_size, 0
	.set _ZN12_GLOBAL__N_129calculator_inverse_diagonal_tI21rocsparse_complex_numIfEllE23kernel_inverse_diagonalILj1024ELb1EEEvlPKlPKS2_21rocsparse_index_base_PS2_S6_lS9_Pi.uses_vcc, 1
	.set _ZN12_GLOBAL__N_129calculator_inverse_diagonal_tI21rocsparse_complex_numIfEllE23kernel_inverse_diagonalILj1024ELb1EEEvlPKlPKS2_21rocsparse_index_base_PS2_S6_lS9_Pi.uses_flat_scratch, 0
	.set _ZN12_GLOBAL__N_129calculator_inverse_diagonal_tI21rocsparse_complex_numIfEllE23kernel_inverse_diagonalILj1024ELb1EEEvlPKlPKS2_21rocsparse_index_base_PS2_S6_lS9_Pi.has_dyn_sized_stack, 0
	.set _ZN12_GLOBAL__N_129calculator_inverse_diagonal_tI21rocsparse_complex_numIfEllE23kernel_inverse_diagonalILj1024ELb1EEEvlPKlPKS2_21rocsparse_index_base_PS2_S6_lS9_Pi.has_recursion, 0
	.set _ZN12_GLOBAL__N_129calculator_inverse_diagonal_tI21rocsparse_complex_numIfEllE23kernel_inverse_diagonalILj1024ELb1EEEvlPKlPKS2_21rocsparse_index_base_PS2_S6_lS9_Pi.has_indirect_call, 0
	.section	.AMDGPU.csdata,"",@progbits
; Kernel info:
; codeLenInByte = 764
; TotalNumSgprs: 17
; NumVgprs: 10
; ScratchSize: 0
; MemoryBound: 0
; FloatMode: 240
; IeeeMode: 1
; LDSByteSize: 0 bytes/workgroup (compile time only)
; SGPRBlocks: 0
; VGPRBlocks: 0
; NumSGPRsForWavesPerEU: 17
; NumVGPRsForWavesPerEU: 10
; NamedBarCnt: 0
; Occupancy: 16
; WaveLimiterHint : 1
; COMPUTE_PGM_RSRC2:SCRATCH_EN: 0
; COMPUTE_PGM_RSRC2:USER_SGPR: 2
; COMPUTE_PGM_RSRC2:TRAP_HANDLER: 0
; COMPUTE_PGM_RSRC2:TGID_X_EN: 1
; COMPUTE_PGM_RSRC2:TGID_Y_EN: 0
; COMPUTE_PGM_RSRC2:TGID_Z_EN: 0
; COMPUTE_PGM_RSRC2:TIDIG_COMP_CNT: 0
	.section	.text._ZN9rocsparseL26kernel_add_scaled_residualILj1024El21rocsparse_complex_numIfEEEvT0_PKT1_PS4_S6_,"axG",@progbits,_ZN9rocsparseL26kernel_add_scaled_residualILj1024El21rocsparse_complex_numIfEEEvT0_PKT1_PS4_S6_,comdat
	.globl	_ZN9rocsparseL26kernel_add_scaled_residualILj1024El21rocsparse_complex_numIfEEEvT0_PKT1_PS4_S6_ ; -- Begin function _ZN9rocsparseL26kernel_add_scaled_residualILj1024El21rocsparse_complex_numIfEEEvT0_PKT1_PS4_S6_
	.p2align	8
	.type	_ZN9rocsparseL26kernel_add_scaled_residualILj1024El21rocsparse_complex_numIfEEEvT0_PKT1_PS4_S6_,@function
_ZN9rocsparseL26kernel_add_scaled_residualILj1024El21rocsparse_complex_numIfEEEvT0_PKT1_PS4_S6_: ; @_ZN9rocsparseL26kernel_add_scaled_residualILj1024El21rocsparse_complex_numIfEEEvT0_PKT1_PS4_S6_
; %bb.0:
	s_load_b64 s[2:3], s[0:1], 0x0
	s_bfe_u32 s4, ttmp6, 0x4000c
	s_and_b32 s5, ttmp6, 15
	s_add_co_i32 s4, s4, 1
	s_getreg_b32 s6, hwreg(HW_REG_IB_STS2, 6, 4)
	s_mul_i32 s4, ttmp9, s4
	v_mov_b32_e32 v1, 0
	s_add_co_i32 s5, s5, s4
	s_cmp_eq_u32 s6, 0
	s_cselect_b32 s4, ttmp9, s5
	s_delay_alu instid0(SALU_CYCLE_1) | instskip(SKIP_1) | instid1(VALU_DEP_1)
	v_lshl_or_b32 v0, s4, 10, v0
	s_wait_kmcnt 0x0
	v_cmp_gt_i64_e32 vcc_lo, s[2:3], v[0:1]
	s_and_saveexec_b32 s2, vcc_lo
	s_cbranch_execz .LBB28_2
; %bb.1:
	s_clause 0x1
	s_load_b64 s[2:3], s[0:1], 0x18
	s_load_b128 s[4:7], s[0:1], 0x8
	v_lshlrev_b64_e32 v[0:1], 3, v[0:1]
	s_wait_kmcnt 0x0
	s_delay_alu instid0(VALU_DEP_1)
	v_add_nc_u64_e32 v[2:3], s[2:3], v[0:1]
	v_add_nc_u64_e32 v[4:5], s[4:5], v[0:1]
	;; [unrolled: 1-line block ×3, first 2 shown]
	global_load_b64 v[6:7], v[2:3], off
	global_load_b64 v[8:9], v[4:5], off
	;; [unrolled: 1-line block ×3, first 2 shown]
	s_wait_loadcnt 0x1
	s_wait_xcnt 0x1
	v_pk_mul_f32 v[4:5], v[8:9], v[6:7] op_sel:[1,1] op_sel_hi:[1,0] neg_lo:[0,1]
	s_delay_alu instid0(VALU_DEP_1) | instskip(SKIP_1) | instid1(VALU_DEP_1)
	v_pk_fma_f32 v[4:5], v[6:7], v[8:9], v[4:5] op_sel_hi:[1,0,1]
	s_wait_loadcnt 0x0
	v_pk_add_f32 v[2:3], v[4:5], v[2:3]
	global_store_b64 v[0:1], v[2:3], off
.LBB28_2:
	s_endpgm
	.section	.rodata,"a",@progbits
	.p2align	6, 0x0
	.amdhsa_kernel _ZN9rocsparseL26kernel_add_scaled_residualILj1024El21rocsparse_complex_numIfEEEvT0_PKT1_PS4_S6_
		.amdhsa_group_segment_fixed_size 0
		.amdhsa_private_segment_fixed_size 0
		.amdhsa_kernarg_size 32
		.amdhsa_user_sgpr_count 2
		.amdhsa_user_sgpr_dispatch_ptr 0
		.amdhsa_user_sgpr_queue_ptr 0
		.amdhsa_user_sgpr_kernarg_segment_ptr 1
		.amdhsa_user_sgpr_dispatch_id 0
		.amdhsa_user_sgpr_kernarg_preload_length 0
		.amdhsa_user_sgpr_kernarg_preload_offset 0
		.amdhsa_user_sgpr_private_segment_size 0
		.amdhsa_wavefront_size32 1
		.amdhsa_uses_dynamic_stack 0
		.amdhsa_enable_private_segment 0
		.amdhsa_system_sgpr_workgroup_id_x 1
		.amdhsa_system_sgpr_workgroup_id_y 0
		.amdhsa_system_sgpr_workgroup_id_z 0
		.amdhsa_system_sgpr_workgroup_info 0
		.amdhsa_system_vgpr_workitem_id 0
		.amdhsa_next_free_vgpr 10
		.amdhsa_next_free_sgpr 8
		.amdhsa_named_barrier_count 0
		.amdhsa_reserve_vcc 1
		.amdhsa_float_round_mode_32 0
		.amdhsa_float_round_mode_16_64 0
		.amdhsa_float_denorm_mode_32 3
		.amdhsa_float_denorm_mode_16_64 3
		.amdhsa_fp16_overflow 0
		.amdhsa_memory_ordered 1
		.amdhsa_forward_progress 1
		.amdhsa_inst_pref_size 2
		.amdhsa_round_robin_scheduling 0
		.amdhsa_exception_fp_ieee_invalid_op 0
		.amdhsa_exception_fp_denorm_src 0
		.amdhsa_exception_fp_ieee_div_zero 0
		.amdhsa_exception_fp_ieee_overflow 0
		.amdhsa_exception_fp_ieee_underflow 0
		.amdhsa_exception_fp_ieee_inexact 0
		.amdhsa_exception_int_div_zero 0
	.end_amdhsa_kernel
	.section	.text._ZN9rocsparseL26kernel_add_scaled_residualILj1024El21rocsparse_complex_numIfEEEvT0_PKT1_PS4_S6_,"axG",@progbits,_ZN9rocsparseL26kernel_add_scaled_residualILj1024El21rocsparse_complex_numIfEEEvT0_PKT1_PS4_S6_,comdat
.Lfunc_end28:
	.size	_ZN9rocsparseL26kernel_add_scaled_residualILj1024El21rocsparse_complex_numIfEEEvT0_PKT1_PS4_S6_, .Lfunc_end28-_ZN9rocsparseL26kernel_add_scaled_residualILj1024El21rocsparse_complex_numIfEEEvT0_PKT1_PS4_S6_
                                        ; -- End function
	.set _ZN9rocsparseL26kernel_add_scaled_residualILj1024El21rocsparse_complex_numIfEEEvT0_PKT1_PS4_S6_.num_vgpr, 10
	.set _ZN9rocsparseL26kernel_add_scaled_residualILj1024El21rocsparse_complex_numIfEEEvT0_PKT1_PS4_S6_.num_agpr, 0
	.set _ZN9rocsparseL26kernel_add_scaled_residualILj1024El21rocsparse_complex_numIfEEEvT0_PKT1_PS4_S6_.numbered_sgpr, 8
	.set _ZN9rocsparseL26kernel_add_scaled_residualILj1024El21rocsparse_complex_numIfEEEvT0_PKT1_PS4_S6_.num_named_barrier, 0
	.set _ZN9rocsparseL26kernel_add_scaled_residualILj1024El21rocsparse_complex_numIfEEEvT0_PKT1_PS4_S6_.private_seg_size, 0
	.set _ZN9rocsparseL26kernel_add_scaled_residualILj1024El21rocsparse_complex_numIfEEEvT0_PKT1_PS4_S6_.uses_vcc, 1
	.set _ZN9rocsparseL26kernel_add_scaled_residualILj1024El21rocsparse_complex_numIfEEEvT0_PKT1_PS4_S6_.uses_flat_scratch, 0
	.set _ZN9rocsparseL26kernel_add_scaled_residualILj1024El21rocsparse_complex_numIfEEEvT0_PKT1_PS4_S6_.has_dyn_sized_stack, 0
	.set _ZN9rocsparseL26kernel_add_scaled_residualILj1024El21rocsparse_complex_numIfEEEvT0_PKT1_PS4_S6_.has_recursion, 0
	.set _ZN9rocsparseL26kernel_add_scaled_residualILj1024El21rocsparse_complex_numIfEEEvT0_PKT1_PS4_S6_.has_indirect_call, 0
	.section	.AMDGPU.csdata,"",@progbits
; Kernel info:
; codeLenInByte = 212
; TotalNumSgprs: 10
; NumVgprs: 10
; ScratchSize: 0
; MemoryBound: 0
; FloatMode: 240
; IeeeMode: 1
; LDSByteSize: 0 bytes/workgroup (compile time only)
; SGPRBlocks: 0
; VGPRBlocks: 0
; NumSGPRsForWavesPerEU: 10
; NumVGPRsForWavesPerEU: 10
; NamedBarCnt: 0
; Occupancy: 16
; WaveLimiterHint : 0
; COMPUTE_PGM_RSRC2:SCRATCH_EN: 0
; COMPUTE_PGM_RSRC2:USER_SGPR: 2
; COMPUTE_PGM_RSRC2:TRAP_HANDLER: 0
; COMPUTE_PGM_RSRC2:TGID_X_EN: 1
; COMPUTE_PGM_RSRC2:TGID_Y_EN: 0
; COMPUTE_PGM_RSRC2:TGID_Z_EN: 0
; COMPUTE_PGM_RSRC2:TIDIG_COMP_CNT: 0
	.section	.text._ZN12_GLOBAL__N_129calculator_inverse_diagonal_tI21rocsparse_complex_numIdEllE23kernel_inverse_diagonalILj1024ELb0EEEvlPKlPKS2_21rocsparse_index_base_PS2_S6_lS9_Pi,"axG",@progbits,_ZN12_GLOBAL__N_129calculator_inverse_diagonal_tI21rocsparse_complex_numIdEllE23kernel_inverse_diagonalILj1024ELb0EEEvlPKlPKS2_21rocsparse_index_base_PS2_S6_lS9_Pi,comdat
	.globl	_ZN12_GLOBAL__N_129calculator_inverse_diagonal_tI21rocsparse_complex_numIdEllE23kernel_inverse_diagonalILj1024ELb0EEEvlPKlPKS2_21rocsparse_index_base_PS2_S6_lS9_Pi ; -- Begin function _ZN12_GLOBAL__N_129calculator_inverse_diagonal_tI21rocsparse_complex_numIdEllE23kernel_inverse_diagonalILj1024ELb0EEEvlPKlPKS2_21rocsparse_index_base_PS2_S6_lS9_Pi
	.p2align	8
	.type	_ZN12_GLOBAL__N_129calculator_inverse_diagonal_tI21rocsparse_complex_numIdEllE23kernel_inverse_diagonalILj1024ELb0EEEvlPKlPKS2_21rocsparse_index_base_PS2_S6_lS9_Pi,@function
_ZN12_GLOBAL__N_129calculator_inverse_diagonal_tI21rocsparse_complex_numIdEllE23kernel_inverse_diagonalILj1024ELb0EEEvlPKlPKS2_21rocsparse_index_base_PS2_S6_lS9_Pi: ; @_ZN12_GLOBAL__N_129calculator_inverse_diagonal_tI21rocsparse_complex_numIdEllE23kernel_inverse_diagonalILj1024ELb0EEEvlPKlPKS2_21rocsparse_index_base_PS2_S6_lS9_Pi
; %bb.0:
	s_load_b64 s[2:3], s[0:1], 0x0
	s_bfe_u32 s4, ttmp6, 0x4000c
	s_and_b32 s5, ttmp6, 15
	s_add_co_i32 s4, s4, 1
	s_getreg_b32 s6, hwreg(HW_REG_IB_STS2, 6, 4)
	s_mul_i32 s4, ttmp9, s4
	v_mov_b32_e32 v9, 0
	s_add_co_i32 s5, s5, s4
	s_cmp_eq_u32 s6, 0
	s_mov_b32 s7, 0
	s_cselect_b32 s4, ttmp9, s5
	s_delay_alu instid0(SALU_CYCLE_1) | instskip(SKIP_1) | instid1(VALU_DEP_1)
	v_lshl_or_b32 v8, s4, 10, v0
	s_wait_kmcnt 0x0
	v_cmp_gt_i64_e32 vcc_lo, s[2:3], v[8:9]
	s_and_saveexec_b32 s2, vcc_lo
	s_cbranch_execz .LBB29_18
; %bb.1:
	s_clause 0x3
	s_load_b128 s[8:11], s[0:1], 0x28
	s_load_b32 s2, s[0:1], 0x38
	s_load_b64 s[4:5], s[0:1], 0x8
	s_load_b32 s6, s[0:1], 0x18
	s_mov_b32 s3, s7
	s_wait_kmcnt 0x0
	v_lshl_add_u64 v[0:1], v[8:9], 3, s[8:9]
	global_load_b64 v[0:1], v[0:1], off
	s_wait_loadcnt 0x0
	v_sub_nc_u64_e64 v[0:1], v[0:1], s[2:3]
	s_mov_b32 s2, exec_lo
	s_delay_alu instid0(VALU_DEP_1) | instskip(NEXT) | instid1(VALU_DEP_1)
	v_add_nc_u64_e32 v[0:1], s[10:11], v[0:1]
	v_lshl_add_u64 v[2:3], v[0:1], 3, s[4:5]
	s_load_b64 s[4:5], s[0:1], 0x40
	global_load_b64 v[2:3], v[2:3], off
	s_wait_loadcnt 0x0
	v_sub_nc_u64_e64 v[2:3], v[2:3], s[6:7]
	s_delay_alu instid0(VALU_DEP_1)
	v_cmpx_ne_u64_e64 v[2:3], v[8:9]
	s_xor_b32 s2, exec_lo, s2
	s_cbranch_execz .LBB29_7
; %bb.2:
	v_add_nc_u32_e32 v0, s6, v8
	s_mov_b32 s7, exec_lo
	s_brev_b32 s3, -2
.LBB29_3:                               ; =>This Inner Loop Header: Depth=1
	s_ctz_i32_b32 s8, s7
	s_delay_alu instid0(VALU_DEP_1) | instid1(SALU_CYCLE_1)
	v_readlane_b32 s9, v0, s8
	s_lshl_b32 s8, 1, s8
	s_delay_alu instid0(SALU_CYCLE_1)
	s_and_not1_b32 s7, s7, s8
	s_min_i32 s3, s3, s9
	s_cmp_lg_u32 s7, 0
	s_cbranch_scc1 .LBB29_3
; %bb.4:
	v_mbcnt_lo_u32_b32 v0, exec_lo, 0
	s_mov_b32 s7, exec_lo
	s_delay_alu instid0(VALU_DEP_1)
	v_cmpx_eq_u32_e32 0, v0
	s_xor_b32 s7, exec_lo, s7
	s_cbranch_execz .LBB29_6
; %bb.5:
	v_dual_mov_b32 v0, 0 :: v_dual_mov_b32 v1, s3
	s_wait_kmcnt 0x0
	global_atomic_min_i32 v0, v1, s[4:5] scope:SCOPE_DEV
.LBB29_6:
	s_wait_xcnt 0x0
	s_or_b32 exec_lo, exec_lo, s7
                                        ; implicit-def: $vgpr0_vgpr1
.LBB29_7:
	s_or_saveexec_b32 s7, s2
	s_load_b64 s[2:3], s[0:1], 0x20
	v_mov_b64_e32 v[6:7], 0
	v_mov_b64_e32 v[4:5], 1.0
	s_xor_b32 exec_lo, exec_lo, s7
	s_cbranch_execz .LBB29_17
; %bb.8:
	s_wait_xcnt 0x0
	s_load_b64 s[0:1], s[0:1], 0x10
	s_wait_kmcnt 0x0
	v_lshl_add_u64 v[0:1], v[0:1], 4, s[0:1]
	global_load_b128 v[0:3], v[0:1], off
	s_wait_loadcnt 0x0
	v_cmp_eq_f64_e32 vcc_lo, 0, v[0:1]
	v_cmp_eq_f64_e64 s0, 0, v[2:3]
	s_and_b32 s0, vcc_lo, s0
	s_wait_xcnt 0x0
	s_and_saveexec_b32 s1, s0
	s_delay_alu instid0(SALU_CYCLE_1)
	s_xor_b32 s0, exec_lo, s1
	s_cbranch_execz .LBB29_14
; %bb.9:
	v_add_nc_u32_e32 v0, s6, v8
	s_mov_b32 s8, exec_lo
	s_brev_b32 s1, -2
.LBB29_10:                              ; =>This Inner Loop Header: Depth=1
	s_ctz_i32_b32 s6, s8
	s_delay_alu instid0(VALU_DEP_1) | instid1(SALU_CYCLE_1)
	v_readlane_b32 s9, v0, s6
	s_lshl_b32 s6, 1, s6
	s_delay_alu instid0(SALU_CYCLE_1)
	s_and_not1_b32 s8, s8, s6
	s_min_i32 s1, s1, s9
	s_cmp_lg_u32 s8, 0
	s_cbranch_scc1 .LBB29_10
; %bb.11:
	v_mbcnt_lo_u32_b32 v0, exec_lo, 0
	s_mov_b32 s6, exec_lo
	s_delay_alu instid0(VALU_DEP_1)
	v_cmpx_eq_u32_e32 0, v0
	s_xor_b32 s6, exec_lo, s6
	s_cbranch_execz .LBB29_13
; %bb.12:
	v_dual_mov_b32 v0, 0 :: v_dual_mov_b32 v1, s1
	global_atomic_min_i32 v0, v1, s[4:5] scope:SCOPE_DEV
.LBB29_13:
	s_wait_xcnt 0x0
	s_or_b32 exec_lo, exec_lo, s6
                                        ; implicit-def: $vgpr2_vgpr3
.LBB29_14:
	s_or_saveexec_b32 s0, s0
	v_mov_b64_e32 v[4:5], 1.0
	v_mov_b64_e32 v[6:7], 0
	s_xor_b32 exec_lo, exec_lo, s0
	s_cbranch_execz .LBB29_16
; %bb.15:
	v_mul_f64_e32 v[4:5], v[2:3], v[2:3]
	s_delay_alu instid0(VALU_DEP_1) | instskip(NEXT) | instid1(VALU_DEP_1)
	v_fmac_f64_e32 v[4:5], v[0:1], v[0:1]
	v_div_scale_f64 v[6:7], null, v[4:5], v[4:5], 1.0
	v_div_scale_f64 v[14:15], vcc_lo, 1.0, v[4:5], 1.0
	s_delay_alu instid0(VALU_DEP_2) | instskip(SKIP_1) | instid1(TRANS32_DEP_1)
	v_rcp_f64_e32 v[10:11], v[6:7]
	v_nop
	v_fma_f64 v[12:13], -v[6:7], v[10:11], 1.0
	s_delay_alu instid0(VALU_DEP_1) | instskip(NEXT) | instid1(VALU_DEP_1)
	v_fmac_f64_e32 v[10:11], v[10:11], v[12:13]
	v_fma_f64 v[12:13], -v[6:7], v[10:11], 1.0
	s_delay_alu instid0(VALU_DEP_1) | instskip(NEXT) | instid1(VALU_DEP_1)
	v_fmac_f64_e32 v[10:11], v[10:11], v[12:13]
	v_mul_f64_e32 v[12:13], v[14:15], v[10:11]
	s_delay_alu instid0(VALU_DEP_1) | instskip(NEXT) | instid1(VALU_DEP_1)
	v_fma_f64 v[6:7], -v[6:7], v[12:13], v[14:15]
	v_div_fmas_f64 v[6:7], v[6:7], v[10:11], v[12:13]
	v_fma_f64 v[10:11], 0, v[2:3], v[0:1]
	v_fma_f64 v[0:1], v[0:1], 0, -v[2:3]
	s_delay_alu instid0(VALU_DEP_3) | instskip(NEXT) | instid1(VALU_DEP_1)
	v_div_fixup_f64 v[6:7], v[6:7], v[4:5], 1.0
	v_mul_f64_e32 v[4:5], v[10:11], v[6:7]
	s_delay_alu instid0(VALU_DEP_3)
	v_mul_f64_e32 v[6:7], v[0:1], v[6:7]
.LBB29_16:
	s_or_b32 exec_lo, exec_lo, s0
.LBB29_17:
	s_delay_alu instid0(SALU_CYCLE_1)
	s_or_b32 exec_lo, exec_lo, s7
	s_wait_kmcnt 0x0
	v_lshl_add_u64 v[0:1], v[8:9], 4, s[2:3]
	global_store_b128 v[0:1], v[4:7], off
.LBB29_18:
	s_endpgm
	.section	.rodata,"a",@progbits
	.p2align	6, 0x0
	.amdhsa_kernel _ZN12_GLOBAL__N_129calculator_inverse_diagonal_tI21rocsparse_complex_numIdEllE23kernel_inverse_diagonalILj1024ELb0EEEvlPKlPKS2_21rocsparse_index_base_PS2_S6_lS9_Pi
		.amdhsa_group_segment_fixed_size 0
		.amdhsa_private_segment_fixed_size 0
		.amdhsa_kernarg_size 72
		.amdhsa_user_sgpr_count 2
		.amdhsa_user_sgpr_dispatch_ptr 0
		.amdhsa_user_sgpr_queue_ptr 0
		.amdhsa_user_sgpr_kernarg_segment_ptr 1
		.amdhsa_user_sgpr_dispatch_id 0
		.amdhsa_user_sgpr_kernarg_preload_length 0
		.amdhsa_user_sgpr_kernarg_preload_offset 0
		.amdhsa_user_sgpr_private_segment_size 0
		.amdhsa_wavefront_size32 1
		.amdhsa_uses_dynamic_stack 0
		.amdhsa_enable_private_segment 0
		.amdhsa_system_sgpr_workgroup_id_x 1
		.amdhsa_system_sgpr_workgroup_id_y 0
		.amdhsa_system_sgpr_workgroup_id_z 0
		.amdhsa_system_sgpr_workgroup_info 0
		.amdhsa_system_vgpr_workitem_id 0
		.amdhsa_next_free_vgpr 16
		.amdhsa_next_free_sgpr 12
		.amdhsa_named_barrier_count 0
		.amdhsa_reserve_vcc 1
		.amdhsa_float_round_mode_32 0
		.amdhsa_float_round_mode_16_64 0
		.amdhsa_float_denorm_mode_32 3
		.amdhsa_float_denorm_mode_16_64 3
		.amdhsa_fp16_overflow 0
		.amdhsa_memory_ordered 1
		.amdhsa_forward_progress 1
		.amdhsa_inst_pref_size 6
		.amdhsa_round_robin_scheduling 0
		.amdhsa_exception_fp_ieee_invalid_op 0
		.amdhsa_exception_fp_denorm_src 0
		.amdhsa_exception_fp_ieee_div_zero 0
		.amdhsa_exception_fp_ieee_overflow 0
		.amdhsa_exception_fp_ieee_underflow 0
		.amdhsa_exception_fp_ieee_inexact 0
		.amdhsa_exception_int_div_zero 0
	.end_amdhsa_kernel
	.section	.text._ZN12_GLOBAL__N_129calculator_inverse_diagonal_tI21rocsparse_complex_numIdEllE23kernel_inverse_diagonalILj1024ELb0EEEvlPKlPKS2_21rocsparse_index_base_PS2_S6_lS9_Pi,"axG",@progbits,_ZN12_GLOBAL__N_129calculator_inverse_diagonal_tI21rocsparse_complex_numIdEllE23kernel_inverse_diagonalILj1024ELb0EEEvlPKlPKS2_21rocsparse_index_base_PS2_S6_lS9_Pi,comdat
.Lfunc_end29:
	.size	_ZN12_GLOBAL__N_129calculator_inverse_diagonal_tI21rocsparse_complex_numIdEllE23kernel_inverse_diagonalILj1024ELb0EEEvlPKlPKS2_21rocsparse_index_base_PS2_S6_lS9_Pi, .Lfunc_end29-_ZN12_GLOBAL__N_129calculator_inverse_diagonal_tI21rocsparse_complex_numIdEllE23kernel_inverse_diagonalILj1024ELb0EEEvlPKlPKS2_21rocsparse_index_base_PS2_S6_lS9_Pi
                                        ; -- End function
	.set _ZN12_GLOBAL__N_129calculator_inverse_diagonal_tI21rocsparse_complex_numIdEllE23kernel_inverse_diagonalILj1024ELb0EEEvlPKlPKS2_21rocsparse_index_base_PS2_S6_lS9_Pi.num_vgpr, 16
	.set _ZN12_GLOBAL__N_129calculator_inverse_diagonal_tI21rocsparse_complex_numIdEllE23kernel_inverse_diagonalILj1024ELb0EEEvlPKlPKS2_21rocsparse_index_base_PS2_S6_lS9_Pi.num_agpr, 0
	.set _ZN12_GLOBAL__N_129calculator_inverse_diagonal_tI21rocsparse_complex_numIdEllE23kernel_inverse_diagonalILj1024ELb0EEEvlPKlPKS2_21rocsparse_index_base_PS2_S6_lS9_Pi.numbered_sgpr, 12
	.set _ZN12_GLOBAL__N_129calculator_inverse_diagonal_tI21rocsparse_complex_numIdEllE23kernel_inverse_diagonalILj1024ELb0EEEvlPKlPKS2_21rocsparse_index_base_PS2_S6_lS9_Pi.num_named_barrier, 0
	.set _ZN12_GLOBAL__N_129calculator_inverse_diagonal_tI21rocsparse_complex_numIdEllE23kernel_inverse_diagonalILj1024ELb0EEEvlPKlPKS2_21rocsparse_index_base_PS2_S6_lS9_Pi.private_seg_size, 0
	.set _ZN12_GLOBAL__N_129calculator_inverse_diagonal_tI21rocsparse_complex_numIdEllE23kernel_inverse_diagonalILj1024ELb0EEEvlPKlPKS2_21rocsparse_index_base_PS2_S6_lS9_Pi.uses_vcc, 1
	.set _ZN12_GLOBAL__N_129calculator_inverse_diagonal_tI21rocsparse_complex_numIdEllE23kernel_inverse_diagonalILj1024ELb0EEEvlPKlPKS2_21rocsparse_index_base_PS2_S6_lS9_Pi.uses_flat_scratch, 0
	.set _ZN12_GLOBAL__N_129calculator_inverse_diagonal_tI21rocsparse_complex_numIdEllE23kernel_inverse_diagonalILj1024ELb0EEEvlPKlPKS2_21rocsparse_index_base_PS2_S6_lS9_Pi.has_dyn_sized_stack, 0
	.set _ZN12_GLOBAL__N_129calculator_inverse_diagonal_tI21rocsparse_complex_numIdEllE23kernel_inverse_diagonalILj1024ELb0EEEvlPKlPKS2_21rocsparse_index_base_PS2_S6_lS9_Pi.has_recursion, 0
	.set _ZN12_GLOBAL__N_129calculator_inverse_diagonal_tI21rocsparse_complex_numIdEllE23kernel_inverse_diagonalILj1024ELb0EEEvlPKlPKS2_21rocsparse_index_base_PS2_S6_lS9_Pi.has_indirect_call, 0
	.section	.AMDGPU.csdata,"",@progbits
; Kernel info:
; codeLenInByte = 748
; TotalNumSgprs: 14
; NumVgprs: 16
; ScratchSize: 0
; MemoryBound: 0
; FloatMode: 240
; IeeeMode: 1
; LDSByteSize: 0 bytes/workgroup (compile time only)
; SGPRBlocks: 0
; VGPRBlocks: 0
; NumSGPRsForWavesPerEU: 14
; NumVGPRsForWavesPerEU: 16
; NamedBarCnt: 0
; Occupancy: 16
; WaveLimiterHint : 1
; COMPUTE_PGM_RSRC2:SCRATCH_EN: 0
; COMPUTE_PGM_RSRC2:USER_SGPR: 2
; COMPUTE_PGM_RSRC2:TRAP_HANDLER: 0
; COMPUTE_PGM_RSRC2:TGID_X_EN: 1
; COMPUTE_PGM_RSRC2:TGID_Y_EN: 0
; COMPUTE_PGM_RSRC2:TGID_Z_EN: 0
; COMPUTE_PGM_RSRC2:TIDIG_COMP_CNT: 0
	.section	.text._ZN12_GLOBAL__N_129calculator_inverse_diagonal_tI21rocsparse_complex_numIdEllE23kernel_inverse_diagonalILj1024ELb1EEEvlPKlPKS2_21rocsparse_index_base_PS2_S6_lS9_Pi,"axG",@progbits,_ZN12_GLOBAL__N_129calculator_inverse_diagonal_tI21rocsparse_complex_numIdEllE23kernel_inverse_diagonalILj1024ELb1EEEvlPKlPKS2_21rocsparse_index_base_PS2_S6_lS9_Pi,comdat
	.globl	_ZN12_GLOBAL__N_129calculator_inverse_diagonal_tI21rocsparse_complex_numIdEllE23kernel_inverse_diagonalILj1024ELb1EEEvlPKlPKS2_21rocsparse_index_base_PS2_S6_lS9_Pi ; -- Begin function _ZN12_GLOBAL__N_129calculator_inverse_diagonal_tI21rocsparse_complex_numIdEllE23kernel_inverse_diagonalILj1024ELb1EEEvlPKlPKS2_21rocsparse_index_base_PS2_S6_lS9_Pi
	.p2align	8
	.type	_ZN12_GLOBAL__N_129calculator_inverse_diagonal_tI21rocsparse_complex_numIdEllE23kernel_inverse_diagonalILj1024ELb1EEEvlPKlPKS2_21rocsparse_index_base_PS2_S6_lS9_Pi,@function
_ZN12_GLOBAL__N_129calculator_inverse_diagonal_tI21rocsparse_complex_numIdEllE23kernel_inverse_diagonalILj1024ELb1EEEvlPKlPKS2_21rocsparse_index_base_PS2_S6_lS9_Pi: ; @_ZN12_GLOBAL__N_129calculator_inverse_diagonal_tI21rocsparse_complex_numIdEllE23kernel_inverse_diagonalILj1024ELb1EEEvlPKlPKS2_21rocsparse_index_base_PS2_S6_lS9_Pi
; %bb.0:
	s_load_b64 s[2:3], s[0:1], 0x0
	s_bfe_u32 s4, ttmp6, 0x4000c
	s_and_b32 s5, ttmp6, 15
	s_add_co_i32 s4, s4, 1
	s_getreg_b32 s6, hwreg(HW_REG_IB_STS2, 6, 4)
	s_mul_i32 s4, ttmp9, s4
	v_mov_b32_e32 v9, 0
	s_add_co_i32 s5, s5, s4
	s_cmp_eq_u32 s6, 0
	s_mov_b32 s7, 0
	s_cselect_b32 s4, ttmp9, s5
	s_delay_alu instid0(SALU_CYCLE_1) | instskip(SKIP_1) | instid1(VALU_DEP_1)
	v_lshl_or_b32 v8, s4, 10, v0
	s_wait_kmcnt 0x0
	v_cmp_gt_i64_e32 vcc_lo, s[2:3], v[8:9]
	s_and_saveexec_b32 s2, vcc_lo
	s_cbranch_execz .LBB30_18
; %bb.1:
	s_clause 0x3
	s_load_b128 s[8:11], s[0:1], 0x28
	s_load_b32 s2, s[0:1], 0x38
	s_load_b64 s[4:5], s[0:1], 0x8
	s_load_b32 s6, s[0:1], 0x18
	s_mov_b32 s3, s7
	s_wait_kmcnt 0x0
	v_lshl_add_u64 v[0:1], v[8:9], 3, s[8:9]
	global_load_b64 v[0:1], v[0:1], off
	s_wait_loadcnt 0x0
	v_sub_nc_u64_e64 v[0:1], v[0:1], s[2:3]
	s_mov_b32 s2, exec_lo
	s_delay_alu instid0(VALU_DEP_1) | instskip(NEXT) | instid1(VALU_DEP_1)
	v_add_nc_u64_e32 v[0:1], s[10:11], v[0:1]
	v_lshl_add_u64 v[2:3], v[0:1], 3, s[4:5]
	s_load_b64 s[4:5], s[0:1], 0x40
	global_load_b64 v[2:3], v[2:3], off
	s_wait_loadcnt 0x0
	v_sub_nc_u64_e64 v[2:3], v[2:3], s[6:7]
	s_delay_alu instid0(VALU_DEP_1)
	v_cmpx_ne_u64_e64 v[2:3], v[8:9]
	s_xor_b32 s2, exec_lo, s2
	s_cbranch_execz .LBB30_7
; %bb.2:
	v_add_nc_u32_e32 v0, s6, v8
	s_mov_b32 s7, exec_lo
	s_brev_b32 s3, -2
.LBB30_3:                               ; =>This Inner Loop Header: Depth=1
	s_ctz_i32_b32 s8, s7
	s_delay_alu instid0(VALU_DEP_1) | instid1(SALU_CYCLE_1)
	v_readlane_b32 s9, v0, s8
	s_lshl_b32 s8, 1, s8
	s_delay_alu instid0(SALU_CYCLE_1)
	s_and_not1_b32 s7, s7, s8
	s_min_i32 s3, s3, s9
	s_cmp_lg_u32 s7, 0
	s_cbranch_scc1 .LBB30_3
; %bb.4:
	v_mbcnt_lo_u32_b32 v0, exec_lo, 0
	s_mov_b32 s7, exec_lo
	s_delay_alu instid0(VALU_DEP_1)
	v_cmpx_eq_u32_e32 0, v0
	s_xor_b32 s7, exec_lo, s7
	s_cbranch_execz .LBB30_6
; %bb.5:
	v_dual_mov_b32 v0, 0 :: v_dual_mov_b32 v1, s3
	s_wait_kmcnt 0x0
	global_atomic_min_i32 v0, v1, s[4:5] scope:SCOPE_DEV
.LBB30_6:
	s_wait_xcnt 0x0
	s_or_b32 exec_lo, exec_lo, s7
                                        ; implicit-def: $vgpr0_vgpr1
.LBB30_7:
	s_or_saveexec_b32 s7, s2
	s_load_b64 s[2:3], s[0:1], 0x20
	v_mov_b64_e32 v[6:7], 0
	v_mov_b64_e32 v[4:5], 1.0
	s_xor_b32 exec_lo, exec_lo, s7
	s_cbranch_execz .LBB30_17
; %bb.8:
	s_wait_xcnt 0x0
	s_load_b64 s[0:1], s[0:1], 0x10
	s_wait_kmcnt 0x0
	v_lshl_add_u64 v[0:1], v[0:1], 4, s[0:1]
	global_load_b128 v[0:3], v[0:1], off
	s_wait_loadcnt 0x0
	v_cmp_eq_f64_e32 vcc_lo, 0, v[0:1]
	v_cmp_eq_f64_e64 s0, 0, v[2:3]
	s_and_b32 s0, vcc_lo, s0
	s_wait_xcnt 0x0
	s_and_saveexec_b32 s1, s0
	s_delay_alu instid0(SALU_CYCLE_1)
	s_xor_b32 s0, exec_lo, s1
	s_cbranch_execz .LBB30_14
; %bb.9:
	v_add_nc_u32_e32 v0, s6, v8
	s_mov_b32 s8, exec_lo
	s_brev_b32 s1, -2
.LBB30_10:                              ; =>This Inner Loop Header: Depth=1
	s_ctz_i32_b32 s6, s8
	s_delay_alu instid0(VALU_DEP_1) | instid1(SALU_CYCLE_1)
	v_readlane_b32 s9, v0, s6
	s_lshl_b32 s6, 1, s6
	s_delay_alu instid0(SALU_CYCLE_1)
	s_and_not1_b32 s8, s8, s6
	s_min_i32 s1, s1, s9
	s_cmp_lg_u32 s8, 0
	s_cbranch_scc1 .LBB30_10
; %bb.11:
	v_mbcnt_lo_u32_b32 v0, exec_lo, 0
	s_mov_b32 s6, exec_lo
	s_delay_alu instid0(VALU_DEP_1)
	v_cmpx_eq_u32_e32 0, v0
	s_xor_b32 s6, exec_lo, s6
	s_cbranch_execz .LBB30_13
; %bb.12:
	v_dual_mov_b32 v0, 0 :: v_dual_mov_b32 v1, s1
	global_atomic_min_i32 v0, v1, s[4:5] scope:SCOPE_DEV
.LBB30_13:
	s_wait_xcnt 0x0
	s_or_b32 exec_lo, exec_lo, s6
                                        ; implicit-def: $vgpr2_vgpr3
.LBB30_14:
	s_or_saveexec_b32 s0, s0
	v_mov_b64_e32 v[4:5], 1.0
	v_mov_b64_e32 v[6:7], 0
	s_xor_b32 exec_lo, exec_lo, s0
	s_cbranch_execz .LBB30_16
; %bb.15:
	v_mul_f64_e32 v[4:5], v[2:3], v[2:3]
	s_delay_alu instid0(VALU_DEP_1) | instskip(NEXT) | instid1(VALU_DEP_1)
	v_fmac_f64_e32 v[4:5], v[0:1], v[0:1]
	v_div_scale_f64 v[6:7], null, v[4:5], v[4:5], 1.0
	v_div_scale_f64 v[14:15], vcc_lo, 1.0, v[4:5], 1.0
	s_delay_alu instid0(VALU_DEP_2) | instskip(SKIP_1) | instid1(TRANS32_DEP_1)
	v_rcp_f64_e32 v[10:11], v[6:7]
	v_nop
	v_fma_f64 v[12:13], -v[6:7], v[10:11], 1.0
	s_delay_alu instid0(VALU_DEP_1) | instskip(NEXT) | instid1(VALU_DEP_1)
	v_fmac_f64_e32 v[10:11], v[10:11], v[12:13]
	v_fma_f64 v[12:13], -v[6:7], v[10:11], 1.0
	s_delay_alu instid0(VALU_DEP_1) | instskip(NEXT) | instid1(VALU_DEP_1)
	v_fmac_f64_e32 v[10:11], v[10:11], v[12:13]
	v_mul_f64_e32 v[12:13], v[14:15], v[10:11]
	s_delay_alu instid0(VALU_DEP_1) | instskip(NEXT) | instid1(VALU_DEP_1)
	v_fma_f64 v[6:7], -v[6:7], v[12:13], v[14:15]
	v_div_fmas_f64 v[6:7], v[6:7], v[10:11], v[12:13]
	v_fmamk_f64 v[10:11], v[2:3], 0x80000000, v[0:1]
	v_fmac_f64_e32 v[2:3], 0, v[0:1]
	s_delay_alu instid0(VALU_DEP_3) | instskip(NEXT) | instid1(VALU_DEP_1)
	v_div_fixup_f64 v[6:7], v[6:7], v[4:5], 1.0
	v_mul_f64_e32 v[4:5], v[10:11], v[6:7]
	s_delay_alu instid0(VALU_DEP_3)
	v_mul_f64_e32 v[6:7], v[2:3], v[6:7]
.LBB30_16:
	s_or_b32 exec_lo, exec_lo, s0
.LBB30_17:
	s_delay_alu instid0(SALU_CYCLE_1)
	s_or_b32 exec_lo, exec_lo, s7
	s_wait_kmcnt 0x0
	v_lshl_add_u64 v[0:1], v[8:9], 4, s[2:3]
	global_store_b128 v[0:1], v[4:7], off
.LBB30_18:
	s_endpgm
	.section	.rodata,"a",@progbits
	.p2align	6, 0x0
	.amdhsa_kernel _ZN12_GLOBAL__N_129calculator_inverse_diagonal_tI21rocsparse_complex_numIdEllE23kernel_inverse_diagonalILj1024ELb1EEEvlPKlPKS2_21rocsparse_index_base_PS2_S6_lS9_Pi
		.amdhsa_group_segment_fixed_size 0
		.amdhsa_private_segment_fixed_size 0
		.amdhsa_kernarg_size 72
		.amdhsa_user_sgpr_count 2
		.amdhsa_user_sgpr_dispatch_ptr 0
		.amdhsa_user_sgpr_queue_ptr 0
		.amdhsa_user_sgpr_kernarg_segment_ptr 1
		.amdhsa_user_sgpr_dispatch_id 0
		.amdhsa_user_sgpr_kernarg_preload_length 0
		.amdhsa_user_sgpr_kernarg_preload_offset 0
		.amdhsa_user_sgpr_private_segment_size 0
		.amdhsa_wavefront_size32 1
		.amdhsa_uses_dynamic_stack 0
		.amdhsa_enable_private_segment 0
		.amdhsa_system_sgpr_workgroup_id_x 1
		.amdhsa_system_sgpr_workgroup_id_y 0
		.amdhsa_system_sgpr_workgroup_id_z 0
		.amdhsa_system_sgpr_workgroup_info 0
		.amdhsa_system_vgpr_workitem_id 0
		.amdhsa_next_free_vgpr 16
		.amdhsa_next_free_sgpr 12
		.amdhsa_named_barrier_count 0
		.amdhsa_reserve_vcc 1
		.amdhsa_float_round_mode_32 0
		.amdhsa_float_round_mode_16_64 0
		.amdhsa_float_denorm_mode_32 3
		.amdhsa_float_denorm_mode_16_64 3
		.amdhsa_fp16_overflow 0
		.amdhsa_memory_ordered 1
		.amdhsa_forward_progress 1
		.amdhsa_inst_pref_size 6
		.amdhsa_round_robin_scheduling 0
		.amdhsa_exception_fp_ieee_invalid_op 0
		.amdhsa_exception_fp_denorm_src 0
		.amdhsa_exception_fp_ieee_div_zero 0
		.amdhsa_exception_fp_ieee_overflow 0
		.amdhsa_exception_fp_ieee_underflow 0
		.amdhsa_exception_fp_ieee_inexact 0
		.amdhsa_exception_int_div_zero 0
	.end_amdhsa_kernel
	.section	.text._ZN12_GLOBAL__N_129calculator_inverse_diagonal_tI21rocsparse_complex_numIdEllE23kernel_inverse_diagonalILj1024ELb1EEEvlPKlPKS2_21rocsparse_index_base_PS2_S6_lS9_Pi,"axG",@progbits,_ZN12_GLOBAL__N_129calculator_inverse_diagonal_tI21rocsparse_complex_numIdEllE23kernel_inverse_diagonalILj1024ELb1EEEvlPKlPKS2_21rocsparse_index_base_PS2_S6_lS9_Pi,comdat
.Lfunc_end30:
	.size	_ZN12_GLOBAL__N_129calculator_inverse_diagonal_tI21rocsparse_complex_numIdEllE23kernel_inverse_diagonalILj1024ELb1EEEvlPKlPKS2_21rocsparse_index_base_PS2_S6_lS9_Pi, .Lfunc_end30-_ZN12_GLOBAL__N_129calculator_inverse_diagonal_tI21rocsparse_complex_numIdEllE23kernel_inverse_diagonalILj1024ELb1EEEvlPKlPKS2_21rocsparse_index_base_PS2_S6_lS9_Pi
                                        ; -- End function
	.set _ZN12_GLOBAL__N_129calculator_inverse_diagonal_tI21rocsparse_complex_numIdEllE23kernel_inverse_diagonalILj1024ELb1EEEvlPKlPKS2_21rocsparse_index_base_PS2_S6_lS9_Pi.num_vgpr, 16
	.set _ZN12_GLOBAL__N_129calculator_inverse_diagonal_tI21rocsparse_complex_numIdEllE23kernel_inverse_diagonalILj1024ELb1EEEvlPKlPKS2_21rocsparse_index_base_PS2_S6_lS9_Pi.num_agpr, 0
	.set _ZN12_GLOBAL__N_129calculator_inverse_diagonal_tI21rocsparse_complex_numIdEllE23kernel_inverse_diagonalILj1024ELb1EEEvlPKlPKS2_21rocsparse_index_base_PS2_S6_lS9_Pi.numbered_sgpr, 12
	.set _ZN12_GLOBAL__N_129calculator_inverse_diagonal_tI21rocsparse_complex_numIdEllE23kernel_inverse_diagonalILj1024ELb1EEEvlPKlPKS2_21rocsparse_index_base_PS2_S6_lS9_Pi.num_named_barrier, 0
	.set _ZN12_GLOBAL__N_129calculator_inverse_diagonal_tI21rocsparse_complex_numIdEllE23kernel_inverse_diagonalILj1024ELb1EEEvlPKlPKS2_21rocsparse_index_base_PS2_S6_lS9_Pi.private_seg_size, 0
	.set _ZN12_GLOBAL__N_129calculator_inverse_diagonal_tI21rocsparse_complex_numIdEllE23kernel_inverse_diagonalILj1024ELb1EEEvlPKlPKS2_21rocsparse_index_base_PS2_S6_lS9_Pi.uses_vcc, 1
	.set _ZN12_GLOBAL__N_129calculator_inverse_diagonal_tI21rocsparse_complex_numIdEllE23kernel_inverse_diagonalILj1024ELb1EEEvlPKlPKS2_21rocsparse_index_base_PS2_S6_lS9_Pi.uses_flat_scratch, 0
	.set _ZN12_GLOBAL__N_129calculator_inverse_diagonal_tI21rocsparse_complex_numIdEllE23kernel_inverse_diagonalILj1024ELb1EEEvlPKlPKS2_21rocsparse_index_base_PS2_S6_lS9_Pi.has_dyn_sized_stack, 0
	.set _ZN12_GLOBAL__N_129calculator_inverse_diagonal_tI21rocsparse_complex_numIdEllE23kernel_inverse_diagonalILj1024ELb1EEEvlPKlPKS2_21rocsparse_index_base_PS2_S6_lS9_Pi.has_recursion, 0
	.set _ZN12_GLOBAL__N_129calculator_inverse_diagonal_tI21rocsparse_complex_numIdEllE23kernel_inverse_diagonalILj1024ELb1EEEvlPKlPKS2_21rocsparse_index_base_PS2_S6_lS9_Pi.has_indirect_call, 0
	.section	.AMDGPU.csdata,"",@progbits
; Kernel info:
; codeLenInByte = 748
; TotalNumSgprs: 14
; NumVgprs: 16
; ScratchSize: 0
; MemoryBound: 0
; FloatMode: 240
; IeeeMode: 1
; LDSByteSize: 0 bytes/workgroup (compile time only)
; SGPRBlocks: 0
; VGPRBlocks: 0
; NumSGPRsForWavesPerEU: 14
; NumVGPRsForWavesPerEU: 16
; NamedBarCnt: 0
; Occupancy: 16
; WaveLimiterHint : 1
; COMPUTE_PGM_RSRC2:SCRATCH_EN: 0
; COMPUTE_PGM_RSRC2:USER_SGPR: 2
; COMPUTE_PGM_RSRC2:TRAP_HANDLER: 0
; COMPUTE_PGM_RSRC2:TGID_X_EN: 1
; COMPUTE_PGM_RSRC2:TGID_Y_EN: 0
; COMPUTE_PGM_RSRC2:TGID_Z_EN: 0
; COMPUTE_PGM_RSRC2:TIDIG_COMP_CNT: 0
	.section	.text._ZN9rocsparseL26kernel_add_scaled_residualILj1024El21rocsparse_complex_numIdEEEvT0_PKT1_PS4_S6_,"axG",@progbits,_ZN9rocsparseL26kernel_add_scaled_residualILj1024El21rocsparse_complex_numIdEEEvT0_PKT1_PS4_S6_,comdat
	.globl	_ZN9rocsparseL26kernel_add_scaled_residualILj1024El21rocsparse_complex_numIdEEEvT0_PKT1_PS4_S6_ ; -- Begin function _ZN9rocsparseL26kernel_add_scaled_residualILj1024El21rocsparse_complex_numIdEEEvT0_PKT1_PS4_S6_
	.p2align	8
	.type	_ZN9rocsparseL26kernel_add_scaled_residualILj1024El21rocsparse_complex_numIdEEEvT0_PKT1_PS4_S6_,@function
_ZN9rocsparseL26kernel_add_scaled_residualILj1024El21rocsparse_complex_numIdEEEvT0_PKT1_PS4_S6_: ; @_ZN9rocsparseL26kernel_add_scaled_residualILj1024El21rocsparse_complex_numIdEEEvT0_PKT1_PS4_S6_
; %bb.0:
	s_load_b64 s[2:3], s[0:1], 0x0
	s_bfe_u32 s4, ttmp6, 0x4000c
	s_and_b32 s5, ttmp6, 15
	s_add_co_i32 s4, s4, 1
	s_getreg_b32 s6, hwreg(HW_REG_IB_STS2, 6, 4)
	s_mul_i32 s4, ttmp9, s4
	v_mov_b32_e32 v1, 0
	s_add_co_i32 s5, s5, s4
	s_cmp_eq_u32 s6, 0
	s_cselect_b32 s4, ttmp9, s5
	s_delay_alu instid0(SALU_CYCLE_1) | instskip(SKIP_1) | instid1(VALU_DEP_1)
	v_lshl_or_b32 v0, s4, 10, v0
	s_wait_kmcnt 0x0
	v_cmp_gt_i64_e32 vcc_lo, s[2:3], v[0:1]
	s_and_saveexec_b32 s2, vcc_lo
	s_cbranch_execz .LBB31_2
; %bb.1:
	s_clause 0x1
	s_load_b128 s[4:7], s[0:1], 0x8
	s_load_b64 s[2:3], s[0:1], 0x18
	v_lshlrev_b64_e32 v[8:9], 4, v[0:1]
	s_wait_kmcnt 0x0
	s_delay_alu instid0(VALU_DEP_1)
	v_add_nc_u64_e32 v[10:11], s[4:5], v[8:9]
	v_add_nc_u64_e32 v[12:13], s[2:3], v[8:9]
	global_load_b128 v[0:3], v[10:11], off
	global_load_b128 v[4:7], v[12:13], off
	s_wait_xcnt 0x0
	v_add_nc_u64_e32 v[12:13], s[6:7], v[8:9]
	global_load_b128 v[8:11], v[12:13], off
	s_wait_loadcnt 0x1
	v_mul_f64_e64 v[14:15], v[2:3], -v[6:7]
	v_mul_f64_e32 v[2:3], v[2:3], v[4:5]
	s_delay_alu instid0(VALU_DEP_2) | instskip(NEXT) | instid1(VALU_DEP_2)
	v_fmac_f64_e32 v[14:15], v[4:5], v[0:1]
	v_fmac_f64_e32 v[2:3], v[6:7], v[0:1]
	s_wait_loadcnt 0x0
	s_delay_alu instid0(VALU_DEP_2) | instskip(NEXT) | instid1(VALU_DEP_2)
	v_add_f64_e32 v[0:1], v[8:9], v[14:15]
	v_add_f64_e32 v[2:3], v[2:3], v[10:11]
	global_store_b128 v[12:13], v[0:3], off
.LBB31_2:
	s_endpgm
	.section	.rodata,"a",@progbits
	.p2align	6, 0x0
	.amdhsa_kernel _ZN9rocsparseL26kernel_add_scaled_residualILj1024El21rocsparse_complex_numIdEEEvT0_PKT1_PS4_S6_
		.amdhsa_group_segment_fixed_size 0
		.amdhsa_private_segment_fixed_size 0
		.amdhsa_kernarg_size 32
		.amdhsa_user_sgpr_count 2
		.amdhsa_user_sgpr_dispatch_ptr 0
		.amdhsa_user_sgpr_queue_ptr 0
		.amdhsa_user_sgpr_kernarg_segment_ptr 1
		.amdhsa_user_sgpr_dispatch_id 0
		.amdhsa_user_sgpr_kernarg_preload_length 0
		.amdhsa_user_sgpr_kernarg_preload_offset 0
		.amdhsa_user_sgpr_private_segment_size 0
		.amdhsa_wavefront_size32 1
		.amdhsa_uses_dynamic_stack 0
		.amdhsa_enable_private_segment 0
		.amdhsa_system_sgpr_workgroup_id_x 1
		.amdhsa_system_sgpr_workgroup_id_y 0
		.amdhsa_system_sgpr_workgroup_id_z 0
		.amdhsa_system_sgpr_workgroup_info 0
		.amdhsa_system_vgpr_workitem_id 0
		.amdhsa_next_free_vgpr 16
		.amdhsa_next_free_sgpr 8
		.amdhsa_named_barrier_count 0
		.amdhsa_reserve_vcc 1
		.amdhsa_float_round_mode_32 0
		.amdhsa_float_round_mode_16_64 0
		.amdhsa_float_denorm_mode_32 3
		.amdhsa_float_denorm_mode_16_64 3
		.amdhsa_fp16_overflow 0
		.amdhsa_memory_ordered 1
		.amdhsa_forward_progress 1
		.amdhsa_inst_pref_size 2
		.amdhsa_round_robin_scheduling 0
		.amdhsa_exception_fp_ieee_invalid_op 0
		.amdhsa_exception_fp_denorm_src 0
		.amdhsa_exception_fp_ieee_div_zero 0
		.amdhsa_exception_fp_ieee_overflow 0
		.amdhsa_exception_fp_ieee_underflow 0
		.amdhsa_exception_fp_ieee_inexact 0
		.amdhsa_exception_int_div_zero 0
	.end_amdhsa_kernel
	.section	.text._ZN9rocsparseL26kernel_add_scaled_residualILj1024El21rocsparse_complex_numIdEEEvT0_PKT1_PS4_S6_,"axG",@progbits,_ZN9rocsparseL26kernel_add_scaled_residualILj1024El21rocsparse_complex_numIdEEEvT0_PKT1_PS4_S6_,comdat
.Lfunc_end31:
	.size	_ZN9rocsparseL26kernel_add_scaled_residualILj1024El21rocsparse_complex_numIdEEEvT0_PKT1_PS4_S6_, .Lfunc_end31-_ZN9rocsparseL26kernel_add_scaled_residualILj1024El21rocsparse_complex_numIdEEEvT0_PKT1_PS4_S6_
                                        ; -- End function
	.set _ZN9rocsparseL26kernel_add_scaled_residualILj1024El21rocsparse_complex_numIdEEEvT0_PKT1_PS4_S6_.num_vgpr, 16
	.set _ZN9rocsparseL26kernel_add_scaled_residualILj1024El21rocsparse_complex_numIdEEEvT0_PKT1_PS4_S6_.num_agpr, 0
	.set _ZN9rocsparseL26kernel_add_scaled_residualILj1024El21rocsparse_complex_numIdEEEvT0_PKT1_PS4_S6_.numbered_sgpr, 8
	.set _ZN9rocsparseL26kernel_add_scaled_residualILj1024El21rocsparse_complex_numIdEEEvT0_PKT1_PS4_S6_.num_named_barrier, 0
	.set _ZN9rocsparseL26kernel_add_scaled_residualILj1024El21rocsparse_complex_numIdEEEvT0_PKT1_PS4_S6_.private_seg_size, 0
	.set _ZN9rocsparseL26kernel_add_scaled_residualILj1024El21rocsparse_complex_numIdEEEvT0_PKT1_PS4_S6_.uses_vcc, 1
	.set _ZN9rocsparseL26kernel_add_scaled_residualILj1024El21rocsparse_complex_numIdEEEvT0_PKT1_PS4_S6_.uses_flat_scratch, 0
	.set _ZN9rocsparseL26kernel_add_scaled_residualILj1024El21rocsparse_complex_numIdEEEvT0_PKT1_PS4_S6_.has_dyn_sized_stack, 0
	.set _ZN9rocsparseL26kernel_add_scaled_residualILj1024El21rocsparse_complex_numIdEEEvT0_PKT1_PS4_S6_.has_recursion, 0
	.set _ZN9rocsparseL26kernel_add_scaled_residualILj1024El21rocsparse_complex_numIdEEEvT0_PKT1_PS4_S6_.has_indirect_call, 0
	.section	.AMDGPU.csdata,"",@progbits
; Kernel info:
; codeLenInByte = 220
; TotalNumSgprs: 10
; NumVgprs: 16
; ScratchSize: 0
; MemoryBound: 1
; FloatMode: 240
; IeeeMode: 1
; LDSByteSize: 0 bytes/workgroup (compile time only)
; SGPRBlocks: 0
; VGPRBlocks: 0
; NumSGPRsForWavesPerEU: 10
; NumVGPRsForWavesPerEU: 16
; NamedBarCnt: 0
; Occupancy: 16
; WaveLimiterHint : 0
; COMPUTE_PGM_RSRC2:SCRATCH_EN: 0
; COMPUTE_PGM_RSRC2:USER_SGPR: 2
; COMPUTE_PGM_RSRC2:TRAP_HANDLER: 0
; COMPUTE_PGM_RSRC2:TGID_X_EN: 1
; COMPUTE_PGM_RSRC2:TGID_Y_EN: 0
; COMPUTE_PGM_RSRC2:TGID_Z_EN: 0
; COMPUTE_PGM_RSRC2:TIDIG_COMP_CNT: 0
	.section	.AMDGPU.gpr_maximums,"",@progbits
	.set amdgpu.max_num_vgpr, 0
	.set amdgpu.max_num_agpr, 0
	.set amdgpu.max_num_sgpr, 0
	.section	.AMDGPU.csdata,"",@progbits
	.type	__hip_cuid_1ad5e80b919d3e54,@object ; @__hip_cuid_1ad5e80b919d3e54
	.section	.bss,"aw",@nobits
	.globl	__hip_cuid_1ad5e80b919d3e54
__hip_cuid_1ad5e80b919d3e54:
	.byte	0                               ; 0x0
	.size	__hip_cuid_1ad5e80b919d3e54, 1

	.ident	"AMD clang version 22.0.0git (https://github.com/RadeonOpenCompute/llvm-project roc-7.2.4 26084 f58b06dce1f9c15707c5f808fd002e18c2accf7e)"
	.section	".note.GNU-stack","",@progbits
	.addrsig
	.addrsig_sym __hip_cuid_1ad5e80b919d3e54
	.amdgpu_metadata
---
amdhsa.kernels:
  - .args:
      - .offset:         0
        .size:           4
        .value_kind:     by_value
      - .actual_access:  read_only
        .address_space:  global
        .offset:         8
        .size:           8
        .value_kind:     global_buffer
      - .actual_access:  read_only
        .address_space:  global
        .offset:         16
        .size:           8
        .value_kind:     global_buffer
      - .offset:         24
        .size:           4
        .value_kind:     by_value
      - .actual_access:  write_only
        .address_space:  global
        .offset:         32
        .size:           8
        .value_kind:     global_buffer
      - .actual_access:  read_only
        .address_space:  global
        .offset:         40
        .size:           8
        .value_kind:     global_buffer
      - .offset:         48
        .size:           4
        .value_kind:     by_value
      - .offset:         52
        .size:           4
        .value_kind:     by_value
      - .address_space:  global
        .offset:         56
        .size:           8
        .value_kind:     global_buffer
    .group_segment_fixed_size: 0
    .kernarg_segment_align: 8
    .kernarg_segment_size: 64
    .language:       OpenCL C
    .language_version:
      - 2
      - 0
    .max_flat_workgroup_size: 1024
    .name:           _ZN12_GLOBAL__N_129calculator_inverse_diagonal_tIfiiE23kernel_inverse_diagonalILj1024ELb0EEEviPKiPKf21rocsparse_index_base_PfS4_iS7_Pi
    .private_segment_fixed_size: 0
    .sgpr_count:     12
    .sgpr_spill_count: 0
    .symbol:         _ZN12_GLOBAL__N_129calculator_inverse_diagonal_tIfiiE23kernel_inverse_diagonalILj1024ELb0EEEviPKiPKf21rocsparse_index_base_PfS4_iS7_Pi.kd
    .uniform_work_group_size: 1
    .uses_dynamic_stack: false
    .vgpr_count:     8
    .vgpr_spill_count: 0
    .wavefront_size: 32
  - .args:
      - .offset:         0
        .size:           4
        .value_kind:     by_value
      - .actual_access:  read_only
        .address_space:  global
        .offset:         8
        .size:           8
        .value_kind:     global_buffer
      - .actual_access:  read_only
        .address_space:  global
        .offset:         16
        .size:           8
        .value_kind:     global_buffer
      - .offset:         24
        .size:           4
        .value_kind:     by_value
      - .actual_access:  write_only
        .address_space:  global
        .offset:         32
        .size:           8
        .value_kind:     global_buffer
      - .actual_access:  read_only
        .address_space:  global
        .offset:         40
        .size:           8
        .value_kind:     global_buffer
      - .offset:         48
        .size:           4
        .value_kind:     by_value
      - .offset:         52
        .size:           4
        .value_kind:     by_value
      - .address_space:  global
        .offset:         56
        .size:           8
        .value_kind:     global_buffer
    .group_segment_fixed_size: 0
    .kernarg_segment_align: 8
    .kernarg_segment_size: 64
    .language:       OpenCL C
    .language_version:
      - 2
      - 0
    .max_flat_workgroup_size: 1024
    .name:           _ZN12_GLOBAL__N_129calculator_inverse_diagonal_tIfiiE23kernel_inverse_diagonalILj1024ELb1EEEviPKiPKf21rocsparse_index_base_PfS4_iS7_Pi
    .private_segment_fixed_size: 0
    .sgpr_count:     12
    .sgpr_spill_count: 0
    .symbol:         _ZN12_GLOBAL__N_129calculator_inverse_diagonal_tIfiiE23kernel_inverse_diagonalILj1024ELb1EEEviPKiPKf21rocsparse_index_base_PfS4_iS7_Pi.kd
    .uniform_work_group_size: 1
    .uses_dynamic_stack: false
    .vgpr_count:     8
    .vgpr_spill_count: 0
    .wavefront_size: 32
  - .args:
      - .offset:         0
        .size:           4
        .value_kind:     by_value
      - .actual_access:  read_only
        .address_space:  global
        .offset:         8
        .size:           8
        .value_kind:     global_buffer
      - .address_space:  global
        .offset:         16
        .size:           8
        .value_kind:     global_buffer
      - .actual_access:  read_only
        .address_space:  global
        .offset:         24
        .size:           8
        .value_kind:     global_buffer
    .group_segment_fixed_size: 0
    .kernarg_segment_align: 8
    .kernarg_segment_size: 32
    .language:       OpenCL C
    .language_version:
      - 2
      - 0
    .max_flat_workgroup_size: 1024
    .name:           _ZN9rocsparseL26kernel_add_scaled_residualILj1024EifEEvT0_PKT1_PS2_S4_
    .private_segment_fixed_size: 0
    .sgpr_count:     10
    .sgpr_spill_count: 0
    .symbol:         _ZN9rocsparseL26kernel_add_scaled_residualILj1024EifEEvT0_PKT1_PS2_S4_.kd
    .uniform_work_group_size: 1
    .uses_dynamic_stack: false
    .vgpr_count:     4
    .vgpr_spill_count: 0
    .wavefront_size: 32
  - .args:
      - .offset:         0
        .size:           4
        .value_kind:     by_value
      - .actual_access:  read_only
        .address_space:  global
        .offset:         8
        .size:           8
        .value_kind:     global_buffer
      - .actual_access:  read_only
        .address_space:  global
        .offset:         16
        .size:           8
        .value_kind:     global_buffer
      - .offset:         24
        .size:           4
        .value_kind:     by_value
      - .actual_access:  write_only
        .address_space:  global
        .offset:         32
        .size:           8
        .value_kind:     global_buffer
      - .actual_access:  read_only
        .address_space:  global
        .offset:         40
        .size:           8
        .value_kind:     global_buffer
      - .offset:         48
        .size:           4
        .value_kind:     by_value
      - .offset:         52
        .size:           4
        .value_kind:     by_value
      - .address_space:  global
        .offset:         56
        .size:           8
        .value_kind:     global_buffer
    .group_segment_fixed_size: 0
    .kernarg_segment_align: 8
    .kernarg_segment_size: 64
    .language:       OpenCL C
    .language_version:
      - 2
      - 0
    .max_flat_workgroup_size: 1024
    .name:           _ZN12_GLOBAL__N_129calculator_inverse_diagonal_tIdiiE23kernel_inverse_diagonalILj1024ELb0EEEviPKiPKd21rocsparse_index_base_PdS4_iS7_Pi
    .private_segment_fixed_size: 0
    .sgpr_count:     12
    .sgpr_spill_count: 0
    .symbol:         _ZN12_GLOBAL__N_129calculator_inverse_diagonal_tIdiiE23kernel_inverse_diagonalILj1024ELb0EEEviPKiPKd21rocsparse_index_base_PdS4_iS7_Pi.kd
    .uniform_work_group_size: 1
    .uses_dynamic_stack: false
    .vgpr_count:     12
    .vgpr_spill_count: 0
    .wavefront_size: 32
  - .args:
      - .offset:         0
        .size:           4
        .value_kind:     by_value
      - .actual_access:  read_only
        .address_space:  global
        .offset:         8
        .size:           8
        .value_kind:     global_buffer
      - .actual_access:  read_only
        .address_space:  global
        .offset:         16
        .size:           8
        .value_kind:     global_buffer
      - .offset:         24
        .size:           4
        .value_kind:     by_value
      - .actual_access:  write_only
        .address_space:  global
        .offset:         32
        .size:           8
        .value_kind:     global_buffer
      - .actual_access:  read_only
        .address_space:  global
        .offset:         40
        .size:           8
        .value_kind:     global_buffer
      - .offset:         48
        .size:           4
        .value_kind:     by_value
      - .offset:         52
        .size:           4
        .value_kind:     by_value
      - .address_space:  global
        .offset:         56
        .size:           8
        .value_kind:     global_buffer
    .group_segment_fixed_size: 0
    .kernarg_segment_align: 8
    .kernarg_segment_size: 64
    .language:       OpenCL C
    .language_version:
      - 2
      - 0
    .max_flat_workgroup_size: 1024
    .name:           _ZN12_GLOBAL__N_129calculator_inverse_diagonal_tIdiiE23kernel_inverse_diagonalILj1024ELb1EEEviPKiPKd21rocsparse_index_base_PdS4_iS7_Pi
    .private_segment_fixed_size: 0
    .sgpr_count:     12
    .sgpr_spill_count: 0
    .symbol:         _ZN12_GLOBAL__N_129calculator_inverse_diagonal_tIdiiE23kernel_inverse_diagonalILj1024ELb1EEEviPKiPKd21rocsparse_index_base_PdS4_iS7_Pi.kd
    .uniform_work_group_size: 1
    .uses_dynamic_stack: false
    .vgpr_count:     12
    .vgpr_spill_count: 0
    .wavefront_size: 32
  - .args:
      - .offset:         0
        .size:           4
        .value_kind:     by_value
      - .actual_access:  read_only
        .address_space:  global
        .offset:         8
        .size:           8
        .value_kind:     global_buffer
      - .address_space:  global
        .offset:         16
        .size:           8
        .value_kind:     global_buffer
      - .actual_access:  read_only
        .address_space:  global
        .offset:         24
        .size:           8
        .value_kind:     global_buffer
    .group_segment_fixed_size: 0
    .kernarg_segment_align: 8
    .kernarg_segment_size: 32
    .language:       OpenCL C
    .language_version:
      - 2
      - 0
    .max_flat_workgroup_size: 1024
    .name:           _ZN9rocsparseL26kernel_add_scaled_residualILj1024EidEEvT0_PKT1_PS2_S4_
    .private_segment_fixed_size: 0
    .sgpr_count:     10
    .sgpr_spill_count: 0
    .symbol:         _ZN9rocsparseL26kernel_add_scaled_residualILj1024EidEEvT0_PKT1_PS2_S4_.kd
    .uniform_work_group_size: 1
    .uses_dynamic_stack: false
    .vgpr_count:     8
    .vgpr_spill_count: 0
    .wavefront_size: 32
  - .args:
      - .offset:         0
        .size:           4
        .value_kind:     by_value
      - .actual_access:  read_only
        .address_space:  global
        .offset:         8
        .size:           8
        .value_kind:     global_buffer
      - .actual_access:  read_only
        .address_space:  global
        .offset:         16
        .size:           8
        .value_kind:     global_buffer
      - .offset:         24
        .size:           4
        .value_kind:     by_value
      - .actual_access:  write_only
        .address_space:  global
        .offset:         32
        .size:           8
        .value_kind:     global_buffer
      - .actual_access:  read_only
        .address_space:  global
        .offset:         40
        .size:           8
        .value_kind:     global_buffer
      - .offset:         48
        .size:           4
        .value_kind:     by_value
      - .offset:         52
        .size:           4
        .value_kind:     by_value
      - .address_space:  global
        .offset:         56
        .size:           8
        .value_kind:     global_buffer
    .group_segment_fixed_size: 0
    .kernarg_segment_align: 8
    .kernarg_segment_size: 64
    .language:       OpenCL C
    .language_version:
      - 2
      - 0
    .max_flat_workgroup_size: 1024
    .name:           _ZN12_GLOBAL__N_129calculator_inverse_diagonal_tI21rocsparse_complex_numIfEiiE23kernel_inverse_diagonalILj1024ELb0EEEviPKiPKS2_21rocsparse_index_base_PS2_S6_iS9_Pi
    .private_segment_fixed_size: 0
    .sgpr_count:     14
    .sgpr_spill_count: 0
    .symbol:         _ZN12_GLOBAL__N_129calculator_inverse_diagonal_tI21rocsparse_complex_numIfEiiE23kernel_inverse_diagonalILj1024ELb0EEEviPKiPKS2_21rocsparse_index_base_PS2_S6_iS9_Pi.kd
    .uniform_work_group_size: 1
    .uses_dynamic_stack: false
    .vgpr_count:     10
    .vgpr_spill_count: 0
    .wavefront_size: 32
  - .args:
      - .offset:         0
        .size:           4
        .value_kind:     by_value
      - .actual_access:  read_only
        .address_space:  global
        .offset:         8
        .size:           8
        .value_kind:     global_buffer
      - .actual_access:  read_only
        .address_space:  global
        .offset:         16
        .size:           8
        .value_kind:     global_buffer
      - .offset:         24
        .size:           4
        .value_kind:     by_value
      - .actual_access:  write_only
        .address_space:  global
        .offset:         32
        .size:           8
        .value_kind:     global_buffer
      - .actual_access:  read_only
        .address_space:  global
        .offset:         40
        .size:           8
        .value_kind:     global_buffer
      - .offset:         48
        .size:           4
        .value_kind:     by_value
      - .offset:         52
        .size:           4
        .value_kind:     by_value
      - .address_space:  global
        .offset:         56
        .size:           8
        .value_kind:     global_buffer
    .group_segment_fixed_size: 0
    .kernarg_segment_align: 8
    .kernarg_segment_size: 64
    .language:       OpenCL C
    .language_version:
      - 2
      - 0
    .max_flat_workgroup_size: 1024
    .name:           _ZN12_GLOBAL__N_129calculator_inverse_diagonal_tI21rocsparse_complex_numIfEiiE23kernel_inverse_diagonalILj1024ELb1EEEviPKiPKS2_21rocsparse_index_base_PS2_S6_iS9_Pi
    .private_segment_fixed_size: 0
    .sgpr_count:     14
    .sgpr_spill_count: 0
    .symbol:         _ZN12_GLOBAL__N_129calculator_inverse_diagonal_tI21rocsparse_complex_numIfEiiE23kernel_inverse_diagonalILj1024ELb1EEEviPKiPKS2_21rocsparse_index_base_PS2_S6_iS9_Pi.kd
    .uniform_work_group_size: 1
    .uses_dynamic_stack: false
    .vgpr_count:     10
    .vgpr_spill_count: 0
    .wavefront_size: 32
  - .args:
      - .offset:         0
        .size:           4
        .value_kind:     by_value
      - .actual_access:  read_only
        .address_space:  global
        .offset:         8
        .size:           8
        .value_kind:     global_buffer
      - .address_space:  global
        .offset:         16
        .size:           8
        .value_kind:     global_buffer
      - .actual_access:  read_only
        .address_space:  global
        .offset:         24
        .size:           8
        .value_kind:     global_buffer
    .group_segment_fixed_size: 0
    .kernarg_segment_align: 8
    .kernarg_segment_size: 32
    .language:       OpenCL C
    .language_version:
      - 2
      - 0
    .max_flat_workgroup_size: 1024
    .name:           _ZN9rocsparseL26kernel_add_scaled_residualILj1024Ei21rocsparse_complex_numIfEEEvT0_PKT1_PS4_S6_
    .private_segment_fixed_size: 0
    .sgpr_count:     10
    .sgpr_spill_count: 0
    .symbol:         _ZN9rocsparseL26kernel_add_scaled_residualILj1024Ei21rocsparse_complex_numIfEEEvT0_PKT1_PS4_S6_.kd
    .uniform_work_group_size: 1
    .uses_dynamic_stack: false
    .vgpr_count:     10
    .vgpr_spill_count: 0
    .wavefront_size: 32
  - .args:
      - .offset:         0
        .size:           4
        .value_kind:     by_value
      - .actual_access:  read_only
        .address_space:  global
        .offset:         8
        .size:           8
        .value_kind:     global_buffer
      - .actual_access:  read_only
        .address_space:  global
        .offset:         16
        .size:           8
        .value_kind:     global_buffer
      - .offset:         24
        .size:           4
        .value_kind:     by_value
      - .actual_access:  write_only
        .address_space:  global
        .offset:         32
        .size:           8
        .value_kind:     global_buffer
      - .actual_access:  read_only
        .address_space:  global
        .offset:         40
        .size:           8
        .value_kind:     global_buffer
      - .offset:         48
        .size:           4
        .value_kind:     by_value
      - .offset:         52
        .size:           4
        .value_kind:     by_value
      - .address_space:  global
        .offset:         56
        .size:           8
        .value_kind:     global_buffer
    .group_segment_fixed_size: 0
    .kernarg_segment_align: 8
    .kernarg_segment_size: 64
    .language:       OpenCL C
    .language_version:
      - 2
      - 0
    .max_flat_workgroup_size: 1024
    .name:           _ZN12_GLOBAL__N_129calculator_inverse_diagonal_tI21rocsparse_complex_numIdEiiE23kernel_inverse_diagonalILj1024ELb0EEEviPKiPKS2_21rocsparse_index_base_PS2_S6_iS9_Pi
    .private_segment_fixed_size: 0
    .sgpr_count:     12
    .sgpr_spill_count: 0
    .symbol:         _ZN12_GLOBAL__N_129calculator_inverse_diagonal_tI21rocsparse_complex_numIdEiiE23kernel_inverse_diagonalILj1024ELb0EEEviPKiPKS2_21rocsparse_index_base_PS2_S6_iS9_Pi.kd
    .uniform_work_group_size: 1
    .uses_dynamic_stack: false
    .vgpr_count:     16
    .vgpr_spill_count: 0
    .wavefront_size: 32
  - .args:
      - .offset:         0
        .size:           4
        .value_kind:     by_value
      - .actual_access:  read_only
        .address_space:  global
        .offset:         8
        .size:           8
        .value_kind:     global_buffer
      - .actual_access:  read_only
        .address_space:  global
        .offset:         16
        .size:           8
        .value_kind:     global_buffer
      - .offset:         24
        .size:           4
        .value_kind:     by_value
      - .actual_access:  write_only
        .address_space:  global
        .offset:         32
        .size:           8
        .value_kind:     global_buffer
      - .actual_access:  read_only
        .address_space:  global
        .offset:         40
        .size:           8
        .value_kind:     global_buffer
      - .offset:         48
        .size:           4
        .value_kind:     by_value
      - .offset:         52
        .size:           4
        .value_kind:     by_value
      - .address_space:  global
        .offset:         56
        .size:           8
        .value_kind:     global_buffer
    .group_segment_fixed_size: 0
    .kernarg_segment_align: 8
    .kernarg_segment_size: 64
    .language:       OpenCL C
    .language_version:
      - 2
      - 0
    .max_flat_workgroup_size: 1024
    .name:           _ZN12_GLOBAL__N_129calculator_inverse_diagonal_tI21rocsparse_complex_numIdEiiE23kernel_inverse_diagonalILj1024ELb1EEEviPKiPKS2_21rocsparse_index_base_PS2_S6_iS9_Pi
    .private_segment_fixed_size: 0
    .sgpr_count:     12
    .sgpr_spill_count: 0
    .symbol:         _ZN12_GLOBAL__N_129calculator_inverse_diagonal_tI21rocsparse_complex_numIdEiiE23kernel_inverse_diagonalILj1024ELb1EEEviPKiPKS2_21rocsparse_index_base_PS2_S6_iS9_Pi.kd
    .uniform_work_group_size: 1
    .uses_dynamic_stack: false
    .vgpr_count:     16
    .vgpr_spill_count: 0
    .wavefront_size: 32
  - .args:
      - .offset:         0
        .size:           4
        .value_kind:     by_value
      - .actual_access:  read_only
        .address_space:  global
        .offset:         8
        .size:           8
        .value_kind:     global_buffer
      - .address_space:  global
        .offset:         16
        .size:           8
        .value_kind:     global_buffer
      - .actual_access:  read_only
        .address_space:  global
        .offset:         24
        .size:           8
        .value_kind:     global_buffer
    .group_segment_fixed_size: 0
    .kernarg_segment_align: 8
    .kernarg_segment_size: 32
    .language:       OpenCL C
    .language_version:
      - 2
      - 0
    .max_flat_workgroup_size: 1024
    .name:           _ZN9rocsparseL26kernel_add_scaled_residualILj1024Ei21rocsparse_complex_numIdEEEvT0_PKT1_PS4_S6_
    .private_segment_fixed_size: 0
    .sgpr_count:     10
    .sgpr_spill_count: 0
    .symbol:         _ZN9rocsparseL26kernel_add_scaled_residualILj1024Ei21rocsparse_complex_numIdEEEvT0_PKT1_PS4_S6_.kd
    .uniform_work_group_size: 1
    .uses_dynamic_stack: false
    .vgpr_count:     16
    .vgpr_spill_count: 0
    .wavefront_size: 32
  - .args:
      - .offset:         0
        .size:           4
        .value_kind:     by_value
      - .actual_access:  read_only
        .address_space:  global
        .offset:         8
        .size:           8
        .value_kind:     global_buffer
      - .actual_access:  read_only
        .address_space:  global
        .offset:         16
        .size:           8
        .value_kind:     global_buffer
      - .offset:         24
        .size:           4
        .value_kind:     by_value
      - .actual_access:  write_only
        .address_space:  global
        .offset:         32
        .size:           8
        .value_kind:     global_buffer
      - .actual_access:  read_only
        .address_space:  global
        .offset:         40
        .size:           8
        .value_kind:     global_buffer
      - .offset:         48
        .size:           4
        .value_kind:     by_value
      - .offset:         52
        .size:           4
        .value_kind:     by_value
      - .address_space:  global
        .offset:         56
        .size:           8
        .value_kind:     global_buffer
    .group_segment_fixed_size: 0
    .kernarg_segment_align: 8
    .kernarg_segment_size: 64
    .language:       OpenCL C
    .language_version:
      - 2
      - 0
    .max_flat_workgroup_size: 1024
    .name:           _ZN12_GLOBAL__N_129calculator_inverse_diagonal_tIfliE23kernel_inverse_diagonalILj1024ELb0EEEviPKiPKf21rocsparse_index_base_PfPKliS7_Pi
    .private_segment_fixed_size: 0
    .sgpr_count:     14
    .sgpr_spill_count: 0
    .symbol:         _ZN12_GLOBAL__N_129calculator_inverse_diagonal_tIfliE23kernel_inverse_diagonalILj1024ELb0EEEviPKiPKf21rocsparse_index_base_PfPKliS7_Pi.kd
    .uniform_work_group_size: 1
    .uses_dynamic_stack: false
    .vgpr_count:     8
    .vgpr_spill_count: 0
    .wavefront_size: 32
  - .args:
      - .offset:         0
        .size:           4
        .value_kind:     by_value
      - .actual_access:  read_only
        .address_space:  global
        .offset:         8
        .size:           8
        .value_kind:     global_buffer
      - .actual_access:  read_only
        .address_space:  global
        .offset:         16
        .size:           8
        .value_kind:     global_buffer
      - .offset:         24
        .size:           4
        .value_kind:     by_value
      - .actual_access:  write_only
        .address_space:  global
        .offset:         32
        .size:           8
        .value_kind:     global_buffer
      - .actual_access:  read_only
        .address_space:  global
        .offset:         40
        .size:           8
        .value_kind:     global_buffer
      - .offset:         48
        .size:           4
        .value_kind:     by_value
      - .offset:         52
        .size:           4
        .value_kind:     by_value
      - .address_space:  global
        .offset:         56
        .size:           8
        .value_kind:     global_buffer
    .group_segment_fixed_size: 0
    .kernarg_segment_align: 8
    .kernarg_segment_size: 64
    .language:       OpenCL C
    .language_version:
      - 2
      - 0
    .max_flat_workgroup_size: 1024
    .name:           _ZN12_GLOBAL__N_129calculator_inverse_diagonal_tIfliE23kernel_inverse_diagonalILj1024ELb1EEEviPKiPKf21rocsparse_index_base_PfPKliS7_Pi
    .private_segment_fixed_size: 0
    .sgpr_count:     14
    .sgpr_spill_count: 0
    .symbol:         _ZN12_GLOBAL__N_129calculator_inverse_diagonal_tIfliE23kernel_inverse_diagonalILj1024ELb1EEEviPKiPKf21rocsparse_index_base_PfPKliS7_Pi.kd
    .uniform_work_group_size: 1
    .uses_dynamic_stack: false
    .vgpr_count:     8
    .vgpr_spill_count: 0
    .wavefront_size: 32
  - .args:
      - .offset:         0
        .size:           4
        .value_kind:     by_value
      - .actual_access:  read_only
        .address_space:  global
        .offset:         8
        .size:           8
        .value_kind:     global_buffer
      - .actual_access:  read_only
        .address_space:  global
        .offset:         16
        .size:           8
        .value_kind:     global_buffer
      - .offset:         24
        .size:           4
        .value_kind:     by_value
      - .actual_access:  write_only
        .address_space:  global
        .offset:         32
        .size:           8
        .value_kind:     global_buffer
      - .actual_access:  read_only
        .address_space:  global
        .offset:         40
        .size:           8
        .value_kind:     global_buffer
      - .offset:         48
        .size:           4
        .value_kind:     by_value
      - .offset:         52
        .size:           4
        .value_kind:     by_value
      - .address_space:  global
        .offset:         56
        .size:           8
        .value_kind:     global_buffer
    .group_segment_fixed_size: 0
    .kernarg_segment_align: 8
    .kernarg_segment_size: 64
    .language:       OpenCL C
    .language_version:
      - 2
      - 0
    .max_flat_workgroup_size: 1024
    .name:           _ZN12_GLOBAL__N_129calculator_inverse_diagonal_tIdliE23kernel_inverse_diagonalILj1024ELb0EEEviPKiPKd21rocsparse_index_base_PdPKliS7_Pi
    .private_segment_fixed_size: 0
    .sgpr_count:     14
    .sgpr_spill_count: 0
    .symbol:         _ZN12_GLOBAL__N_129calculator_inverse_diagonal_tIdliE23kernel_inverse_diagonalILj1024ELb0EEEviPKiPKd21rocsparse_index_base_PdPKliS7_Pi.kd
    .uniform_work_group_size: 1
    .uses_dynamic_stack: false
    .vgpr_count:     12
    .vgpr_spill_count: 0
    .wavefront_size: 32
  - .args:
      - .offset:         0
        .size:           4
        .value_kind:     by_value
      - .actual_access:  read_only
        .address_space:  global
        .offset:         8
        .size:           8
        .value_kind:     global_buffer
      - .actual_access:  read_only
        .address_space:  global
        .offset:         16
        .size:           8
        .value_kind:     global_buffer
      - .offset:         24
        .size:           4
        .value_kind:     by_value
      - .actual_access:  write_only
        .address_space:  global
        .offset:         32
        .size:           8
        .value_kind:     global_buffer
      - .actual_access:  read_only
        .address_space:  global
        .offset:         40
        .size:           8
        .value_kind:     global_buffer
      - .offset:         48
        .size:           4
        .value_kind:     by_value
      - .offset:         52
        .size:           4
        .value_kind:     by_value
      - .address_space:  global
        .offset:         56
        .size:           8
        .value_kind:     global_buffer
    .group_segment_fixed_size: 0
    .kernarg_segment_align: 8
    .kernarg_segment_size: 64
    .language:       OpenCL C
    .language_version:
      - 2
      - 0
    .max_flat_workgroup_size: 1024
    .name:           _ZN12_GLOBAL__N_129calculator_inverse_diagonal_tIdliE23kernel_inverse_diagonalILj1024ELb1EEEviPKiPKd21rocsparse_index_base_PdPKliS7_Pi
    .private_segment_fixed_size: 0
    .sgpr_count:     14
    .sgpr_spill_count: 0
    .symbol:         _ZN12_GLOBAL__N_129calculator_inverse_diagonal_tIdliE23kernel_inverse_diagonalILj1024ELb1EEEviPKiPKd21rocsparse_index_base_PdPKliS7_Pi.kd
    .uniform_work_group_size: 1
    .uses_dynamic_stack: false
    .vgpr_count:     12
    .vgpr_spill_count: 0
    .wavefront_size: 32
  - .args:
      - .offset:         0
        .size:           4
        .value_kind:     by_value
      - .actual_access:  read_only
        .address_space:  global
        .offset:         8
        .size:           8
        .value_kind:     global_buffer
      - .actual_access:  read_only
        .address_space:  global
        .offset:         16
        .size:           8
        .value_kind:     global_buffer
      - .offset:         24
        .size:           4
        .value_kind:     by_value
      - .actual_access:  write_only
        .address_space:  global
        .offset:         32
        .size:           8
        .value_kind:     global_buffer
      - .actual_access:  read_only
        .address_space:  global
        .offset:         40
        .size:           8
        .value_kind:     global_buffer
      - .offset:         48
        .size:           4
        .value_kind:     by_value
      - .offset:         52
        .size:           4
        .value_kind:     by_value
      - .address_space:  global
        .offset:         56
        .size:           8
        .value_kind:     global_buffer
    .group_segment_fixed_size: 0
    .kernarg_segment_align: 8
    .kernarg_segment_size: 64
    .language:       OpenCL C
    .language_version:
      - 2
      - 0
    .max_flat_workgroup_size: 1024
    .name:           _ZN12_GLOBAL__N_129calculator_inverse_diagonal_tI21rocsparse_complex_numIfEliE23kernel_inverse_diagonalILj1024ELb0EEEviPKiPKS2_21rocsparse_index_base_PS2_PKliS9_Pi
    .private_segment_fixed_size: 0
    .sgpr_count:     14
    .sgpr_spill_count: 0
    .symbol:         _ZN12_GLOBAL__N_129calculator_inverse_diagonal_tI21rocsparse_complex_numIfEliE23kernel_inverse_diagonalILj1024ELb0EEEviPKiPKS2_21rocsparse_index_base_PS2_PKliS9_Pi.kd
    .uniform_work_group_size: 1
    .uses_dynamic_stack: false
    .vgpr_count:     10
    .vgpr_spill_count: 0
    .wavefront_size: 32
  - .args:
      - .offset:         0
        .size:           4
        .value_kind:     by_value
      - .actual_access:  read_only
        .address_space:  global
        .offset:         8
        .size:           8
        .value_kind:     global_buffer
      - .actual_access:  read_only
        .address_space:  global
        .offset:         16
        .size:           8
        .value_kind:     global_buffer
      - .offset:         24
        .size:           4
        .value_kind:     by_value
      - .actual_access:  write_only
        .address_space:  global
        .offset:         32
        .size:           8
        .value_kind:     global_buffer
      - .actual_access:  read_only
        .address_space:  global
        .offset:         40
        .size:           8
        .value_kind:     global_buffer
      - .offset:         48
        .size:           4
        .value_kind:     by_value
      - .offset:         52
        .size:           4
        .value_kind:     by_value
      - .address_space:  global
        .offset:         56
        .size:           8
        .value_kind:     global_buffer
    .group_segment_fixed_size: 0
    .kernarg_segment_align: 8
    .kernarg_segment_size: 64
    .language:       OpenCL C
    .language_version:
      - 2
      - 0
    .max_flat_workgroup_size: 1024
    .name:           _ZN12_GLOBAL__N_129calculator_inverse_diagonal_tI21rocsparse_complex_numIfEliE23kernel_inverse_diagonalILj1024ELb1EEEviPKiPKS2_21rocsparse_index_base_PS2_PKliS9_Pi
    .private_segment_fixed_size: 0
    .sgpr_count:     14
    .sgpr_spill_count: 0
    .symbol:         _ZN12_GLOBAL__N_129calculator_inverse_diagonal_tI21rocsparse_complex_numIfEliE23kernel_inverse_diagonalILj1024ELb1EEEviPKiPKS2_21rocsparse_index_base_PS2_PKliS9_Pi.kd
    .uniform_work_group_size: 1
    .uses_dynamic_stack: false
    .vgpr_count:     10
    .vgpr_spill_count: 0
    .wavefront_size: 32
  - .args:
      - .offset:         0
        .size:           4
        .value_kind:     by_value
      - .actual_access:  read_only
        .address_space:  global
        .offset:         8
        .size:           8
        .value_kind:     global_buffer
      - .actual_access:  read_only
        .address_space:  global
        .offset:         16
        .size:           8
        .value_kind:     global_buffer
      - .offset:         24
        .size:           4
        .value_kind:     by_value
      - .actual_access:  write_only
        .address_space:  global
        .offset:         32
        .size:           8
        .value_kind:     global_buffer
      - .actual_access:  read_only
        .address_space:  global
        .offset:         40
        .size:           8
        .value_kind:     global_buffer
      - .offset:         48
        .size:           4
        .value_kind:     by_value
      - .offset:         52
        .size:           4
        .value_kind:     by_value
      - .address_space:  global
        .offset:         56
        .size:           8
        .value_kind:     global_buffer
    .group_segment_fixed_size: 0
    .kernarg_segment_align: 8
    .kernarg_segment_size: 64
    .language:       OpenCL C
    .language_version:
      - 2
      - 0
    .max_flat_workgroup_size: 1024
    .name:           _ZN12_GLOBAL__N_129calculator_inverse_diagonal_tI21rocsparse_complex_numIdEliE23kernel_inverse_diagonalILj1024ELb0EEEviPKiPKS2_21rocsparse_index_base_PS2_PKliS9_Pi
    .private_segment_fixed_size: 0
    .sgpr_count:     14
    .sgpr_spill_count: 0
    .symbol:         _ZN12_GLOBAL__N_129calculator_inverse_diagonal_tI21rocsparse_complex_numIdEliE23kernel_inverse_diagonalILj1024ELb0EEEviPKiPKS2_21rocsparse_index_base_PS2_PKliS9_Pi.kd
    .uniform_work_group_size: 1
    .uses_dynamic_stack: false
    .vgpr_count:     16
    .vgpr_spill_count: 0
    .wavefront_size: 32
  - .args:
      - .offset:         0
        .size:           4
        .value_kind:     by_value
      - .actual_access:  read_only
        .address_space:  global
        .offset:         8
        .size:           8
        .value_kind:     global_buffer
      - .actual_access:  read_only
        .address_space:  global
        .offset:         16
        .size:           8
        .value_kind:     global_buffer
      - .offset:         24
        .size:           4
        .value_kind:     by_value
      - .actual_access:  write_only
        .address_space:  global
        .offset:         32
        .size:           8
        .value_kind:     global_buffer
      - .actual_access:  read_only
        .address_space:  global
        .offset:         40
        .size:           8
        .value_kind:     global_buffer
      - .offset:         48
        .size:           4
        .value_kind:     by_value
      - .offset:         52
        .size:           4
        .value_kind:     by_value
      - .address_space:  global
        .offset:         56
        .size:           8
        .value_kind:     global_buffer
    .group_segment_fixed_size: 0
    .kernarg_segment_align: 8
    .kernarg_segment_size: 64
    .language:       OpenCL C
    .language_version:
      - 2
      - 0
    .max_flat_workgroup_size: 1024
    .name:           _ZN12_GLOBAL__N_129calculator_inverse_diagonal_tI21rocsparse_complex_numIdEliE23kernel_inverse_diagonalILj1024ELb1EEEviPKiPKS2_21rocsparse_index_base_PS2_PKliS9_Pi
    .private_segment_fixed_size: 0
    .sgpr_count:     14
    .sgpr_spill_count: 0
    .symbol:         _ZN12_GLOBAL__N_129calculator_inverse_diagonal_tI21rocsparse_complex_numIdEliE23kernel_inverse_diagonalILj1024ELb1EEEviPKiPKS2_21rocsparse_index_base_PS2_PKliS9_Pi.kd
    .uniform_work_group_size: 1
    .uses_dynamic_stack: false
    .vgpr_count:     16
    .vgpr_spill_count: 0
    .wavefront_size: 32
  - .args:
      - .offset:         0
        .size:           8
        .value_kind:     by_value
      - .actual_access:  read_only
        .address_space:  global
        .offset:         8
        .size:           8
        .value_kind:     global_buffer
      - .actual_access:  read_only
        .address_space:  global
        .offset:         16
        .size:           8
        .value_kind:     global_buffer
      - .offset:         24
        .size:           4
        .value_kind:     by_value
      - .actual_access:  write_only
        .address_space:  global
        .offset:         32
        .size:           8
        .value_kind:     global_buffer
      - .actual_access:  read_only
        .address_space:  global
        .offset:         40
        .size:           8
        .value_kind:     global_buffer
      - .offset:         48
        .size:           8
        .value_kind:     by_value
      - .offset:         56
        .size:           4
        .value_kind:     by_value
      - .address_space:  global
        .offset:         64
        .size:           8
        .value_kind:     global_buffer
    .group_segment_fixed_size: 0
    .kernarg_segment_align: 8
    .kernarg_segment_size: 72
    .language:       OpenCL C
    .language_version:
      - 2
      - 0
    .max_flat_workgroup_size: 1024
    .name:           _ZN12_GLOBAL__N_129calculator_inverse_diagonal_tIfllE23kernel_inverse_diagonalILj1024ELb0EEEvlPKlPKf21rocsparse_index_base_PfS4_lS7_Pi
    .private_segment_fixed_size: 0
    .sgpr_count:     14
    .sgpr_spill_count: 0
    .symbol:         _ZN12_GLOBAL__N_129calculator_inverse_diagonal_tIfllE23kernel_inverse_diagonalILj1024ELb0EEEvlPKlPKf21rocsparse_index_base_PfS4_lS7_Pi.kd
    .uniform_work_group_size: 1
    .uses_dynamic_stack: false
    .vgpr_count:     8
    .vgpr_spill_count: 0
    .wavefront_size: 32
  - .args:
      - .offset:         0
        .size:           8
        .value_kind:     by_value
      - .actual_access:  read_only
        .address_space:  global
        .offset:         8
        .size:           8
        .value_kind:     global_buffer
      - .actual_access:  read_only
        .address_space:  global
        .offset:         16
        .size:           8
        .value_kind:     global_buffer
      - .offset:         24
        .size:           4
        .value_kind:     by_value
      - .actual_access:  write_only
        .address_space:  global
        .offset:         32
        .size:           8
        .value_kind:     global_buffer
      - .actual_access:  read_only
        .address_space:  global
        .offset:         40
        .size:           8
        .value_kind:     global_buffer
      - .offset:         48
        .size:           8
        .value_kind:     by_value
      - .offset:         56
        .size:           4
        .value_kind:     by_value
      - .address_space:  global
        .offset:         64
        .size:           8
        .value_kind:     global_buffer
    .group_segment_fixed_size: 0
    .kernarg_segment_align: 8
    .kernarg_segment_size: 72
    .language:       OpenCL C
    .language_version:
      - 2
      - 0
    .max_flat_workgroup_size: 1024
    .name:           _ZN12_GLOBAL__N_129calculator_inverse_diagonal_tIfllE23kernel_inverse_diagonalILj1024ELb1EEEvlPKlPKf21rocsparse_index_base_PfS4_lS7_Pi
    .private_segment_fixed_size: 0
    .sgpr_count:     14
    .sgpr_spill_count: 0
    .symbol:         _ZN12_GLOBAL__N_129calculator_inverse_diagonal_tIfllE23kernel_inverse_diagonalILj1024ELb1EEEvlPKlPKf21rocsparse_index_base_PfS4_lS7_Pi.kd
    .uniform_work_group_size: 1
    .uses_dynamic_stack: false
    .vgpr_count:     8
    .vgpr_spill_count: 0
    .wavefront_size: 32
  - .args:
      - .offset:         0
        .size:           8
        .value_kind:     by_value
      - .actual_access:  read_only
        .address_space:  global
        .offset:         8
        .size:           8
        .value_kind:     global_buffer
      - .address_space:  global
        .offset:         16
        .size:           8
        .value_kind:     global_buffer
      - .actual_access:  read_only
        .address_space:  global
        .offset:         24
        .size:           8
        .value_kind:     global_buffer
    .group_segment_fixed_size: 0
    .kernarg_segment_align: 8
    .kernarg_segment_size: 32
    .language:       OpenCL C
    .language_version:
      - 2
      - 0
    .max_flat_workgroup_size: 1024
    .name:           _ZN9rocsparseL26kernel_add_scaled_residualILj1024ElfEEvT0_PKT1_PS2_S4_
    .private_segment_fixed_size: 0
    .sgpr_count:     10
    .sgpr_spill_count: 0
    .symbol:         _ZN9rocsparseL26kernel_add_scaled_residualILj1024ElfEEvT0_PKT1_PS2_S4_.kd
    .uniform_work_group_size: 1
    .uses_dynamic_stack: false
    .vgpr_count:     9
    .vgpr_spill_count: 0
    .wavefront_size: 32
  - .args:
      - .offset:         0
        .size:           8
        .value_kind:     by_value
      - .actual_access:  read_only
        .address_space:  global
        .offset:         8
        .size:           8
        .value_kind:     global_buffer
      - .actual_access:  read_only
        .address_space:  global
        .offset:         16
        .size:           8
        .value_kind:     global_buffer
      - .offset:         24
        .size:           4
        .value_kind:     by_value
      - .actual_access:  write_only
        .address_space:  global
        .offset:         32
        .size:           8
        .value_kind:     global_buffer
      - .actual_access:  read_only
        .address_space:  global
        .offset:         40
        .size:           8
        .value_kind:     global_buffer
      - .offset:         48
        .size:           8
        .value_kind:     by_value
      - .offset:         56
        .size:           4
        .value_kind:     by_value
      - .address_space:  global
        .offset:         64
        .size:           8
        .value_kind:     global_buffer
    .group_segment_fixed_size: 0
    .kernarg_segment_align: 8
    .kernarg_segment_size: 72
    .language:       OpenCL C
    .language_version:
      - 2
      - 0
    .max_flat_workgroup_size: 1024
    .name:           _ZN12_GLOBAL__N_129calculator_inverse_diagonal_tIdllE23kernel_inverse_diagonalILj1024ELb0EEEvlPKlPKd21rocsparse_index_base_PdS4_lS7_Pi
    .private_segment_fixed_size: 0
    .sgpr_count:     14
    .sgpr_spill_count: 0
    .symbol:         _ZN12_GLOBAL__N_129calculator_inverse_diagonal_tIdllE23kernel_inverse_diagonalILj1024ELb0EEEvlPKlPKd21rocsparse_index_base_PdS4_lS7_Pi.kd
    .uniform_work_group_size: 1
    .uses_dynamic_stack: false
    .vgpr_count:     12
    .vgpr_spill_count: 0
    .wavefront_size: 32
  - .args:
      - .offset:         0
        .size:           8
        .value_kind:     by_value
      - .actual_access:  read_only
        .address_space:  global
        .offset:         8
        .size:           8
        .value_kind:     global_buffer
      - .actual_access:  read_only
        .address_space:  global
        .offset:         16
        .size:           8
        .value_kind:     global_buffer
      - .offset:         24
        .size:           4
        .value_kind:     by_value
      - .actual_access:  write_only
        .address_space:  global
        .offset:         32
        .size:           8
        .value_kind:     global_buffer
      - .actual_access:  read_only
        .address_space:  global
        .offset:         40
        .size:           8
        .value_kind:     global_buffer
      - .offset:         48
        .size:           8
        .value_kind:     by_value
      - .offset:         56
        .size:           4
        .value_kind:     by_value
      - .address_space:  global
        .offset:         64
        .size:           8
        .value_kind:     global_buffer
    .group_segment_fixed_size: 0
    .kernarg_segment_align: 8
    .kernarg_segment_size: 72
    .language:       OpenCL C
    .language_version:
      - 2
      - 0
    .max_flat_workgroup_size: 1024
    .name:           _ZN12_GLOBAL__N_129calculator_inverse_diagonal_tIdllE23kernel_inverse_diagonalILj1024ELb1EEEvlPKlPKd21rocsparse_index_base_PdS4_lS7_Pi
    .private_segment_fixed_size: 0
    .sgpr_count:     14
    .sgpr_spill_count: 0
    .symbol:         _ZN12_GLOBAL__N_129calculator_inverse_diagonal_tIdllE23kernel_inverse_diagonalILj1024ELb1EEEvlPKlPKd21rocsparse_index_base_PdS4_lS7_Pi.kd
    .uniform_work_group_size: 1
    .uses_dynamic_stack: false
    .vgpr_count:     12
    .vgpr_spill_count: 0
    .wavefront_size: 32
  - .args:
      - .offset:         0
        .size:           8
        .value_kind:     by_value
      - .actual_access:  read_only
        .address_space:  global
        .offset:         8
        .size:           8
        .value_kind:     global_buffer
      - .address_space:  global
        .offset:         16
        .size:           8
        .value_kind:     global_buffer
      - .actual_access:  read_only
        .address_space:  global
        .offset:         24
        .size:           8
        .value_kind:     global_buffer
    .group_segment_fixed_size: 0
    .kernarg_segment_align: 8
    .kernarg_segment_size: 32
    .language:       OpenCL C
    .language_version:
      - 2
      - 0
    .max_flat_workgroup_size: 1024
    .name:           _ZN9rocsparseL26kernel_add_scaled_residualILj1024EldEEvT0_PKT1_PS2_S4_
    .private_segment_fixed_size: 0
    .sgpr_count:     10
    .sgpr_spill_count: 0
    .symbol:         _ZN9rocsparseL26kernel_add_scaled_residualILj1024EldEEvT0_PKT1_PS2_S4_.kd
    .uniform_work_group_size: 1
    .uses_dynamic_stack: false
    .vgpr_count:     12
    .vgpr_spill_count: 0
    .wavefront_size: 32
  - .args:
      - .offset:         0
        .size:           8
        .value_kind:     by_value
      - .actual_access:  read_only
        .address_space:  global
        .offset:         8
        .size:           8
        .value_kind:     global_buffer
      - .actual_access:  read_only
        .address_space:  global
        .offset:         16
        .size:           8
        .value_kind:     global_buffer
      - .offset:         24
        .size:           4
        .value_kind:     by_value
      - .actual_access:  write_only
        .address_space:  global
        .offset:         32
        .size:           8
        .value_kind:     global_buffer
      - .actual_access:  read_only
        .address_space:  global
        .offset:         40
        .size:           8
        .value_kind:     global_buffer
      - .offset:         48
        .size:           8
        .value_kind:     by_value
      - .offset:         56
        .size:           4
        .value_kind:     by_value
      - .address_space:  global
        .offset:         64
        .size:           8
        .value_kind:     global_buffer
    .group_segment_fixed_size: 0
    .kernarg_segment_align: 8
    .kernarg_segment_size: 72
    .language:       OpenCL C
    .language_version:
      - 2
      - 0
    .max_flat_workgroup_size: 1024
    .name:           _ZN12_GLOBAL__N_129calculator_inverse_diagonal_tI21rocsparse_complex_numIfEllE23kernel_inverse_diagonalILj1024ELb0EEEvlPKlPKS2_21rocsparse_index_base_PS2_S6_lS9_Pi
    .private_segment_fixed_size: 0
    .sgpr_count:     17
    .sgpr_spill_count: 0
    .symbol:         _ZN12_GLOBAL__N_129calculator_inverse_diagonal_tI21rocsparse_complex_numIfEllE23kernel_inverse_diagonalILj1024ELb0EEEvlPKlPKS2_21rocsparse_index_base_PS2_S6_lS9_Pi.kd
    .uniform_work_group_size: 1
    .uses_dynamic_stack: false
    .vgpr_count:     10
    .vgpr_spill_count: 0
    .wavefront_size: 32
  - .args:
      - .offset:         0
        .size:           8
        .value_kind:     by_value
      - .actual_access:  read_only
        .address_space:  global
        .offset:         8
        .size:           8
        .value_kind:     global_buffer
      - .actual_access:  read_only
        .address_space:  global
        .offset:         16
        .size:           8
        .value_kind:     global_buffer
      - .offset:         24
        .size:           4
        .value_kind:     by_value
      - .actual_access:  write_only
        .address_space:  global
        .offset:         32
        .size:           8
        .value_kind:     global_buffer
      - .actual_access:  read_only
        .address_space:  global
        .offset:         40
        .size:           8
        .value_kind:     global_buffer
      - .offset:         48
        .size:           8
        .value_kind:     by_value
      - .offset:         56
        .size:           4
        .value_kind:     by_value
      - .address_space:  global
        .offset:         64
        .size:           8
        .value_kind:     global_buffer
    .group_segment_fixed_size: 0
    .kernarg_segment_align: 8
    .kernarg_segment_size: 72
    .language:       OpenCL C
    .language_version:
      - 2
      - 0
    .max_flat_workgroup_size: 1024
    .name:           _ZN12_GLOBAL__N_129calculator_inverse_diagonal_tI21rocsparse_complex_numIfEllE23kernel_inverse_diagonalILj1024ELb1EEEvlPKlPKS2_21rocsparse_index_base_PS2_S6_lS9_Pi
    .private_segment_fixed_size: 0
    .sgpr_count:     17
    .sgpr_spill_count: 0
    .symbol:         _ZN12_GLOBAL__N_129calculator_inverse_diagonal_tI21rocsparse_complex_numIfEllE23kernel_inverse_diagonalILj1024ELb1EEEvlPKlPKS2_21rocsparse_index_base_PS2_S6_lS9_Pi.kd
    .uniform_work_group_size: 1
    .uses_dynamic_stack: false
    .vgpr_count:     10
    .vgpr_spill_count: 0
    .wavefront_size: 32
  - .args:
      - .offset:         0
        .size:           8
        .value_kind:     by_value
      - .actual_access:  read_only
        .address_space:  global
        .offset:         8
        .size:           8
        .value_kind:     global_buffer
      - .address_space:  global
        .offset:         16
        .size:           8
        .value_kind:     global_buffer
      - .actual_access:  read_only
        .address_space:  global
        .offset:         24
        .size:           8
        .value_kind:     global_buffer
    .group_segment_fixed_size: 0
    .kernarg_segment_align: 8
    .kernarg_segment_size: 32
    .language:       OpenCL C
    .language_version:
      - 2
      - 0
    .max_flat_workgroup_size: 1024
    .name:           _ZN9rocsparseL26kernel_add_scaled_residualILj1024El21rocsparse_complex_numIfEEEvT0_PKT1_PS4_S6_
    .private_segment_fixed_size: 0
    .sgpr_count:     10
    .sgpr_spill_count: 0
    .symbol:         _ZN9rocsparseL26kernel_add_scaled_residualILj1024El21rocsparse_complex_numIfEEEvT0_PKT1_PS4_S6_.kd
    .uniform_work_group_size: 1
    .uses_dynamic_stack: false
    .vgpr_count:     10
    .vgpr_spill_count: 0
    .wavefront_size: 32
  - .args:
      - .offset:         0
        .size:           8
        .value_kind:     by_value
      - .actual_access:  read_only
        .address_space:  global
        .offset:         8
        .size:           8
        .value_kind:     global_buffer
      - .actual_access:  read_only
        .address_space:  global
        .offset:         16
        .size:           8
        .value_kind:     global_buffer
      - .offset:         24
        .size:           4
        .value_kind:     by_value
      - .actual_access:  write_only
        .address_space:  global
        .offset:         32
        .size:           8
        .value_kind:     global_buffer
      - .actual_access:  read_only
        .address_space:  global
        .offset:         40
        .size:           8
        .value_kind:     global_buffer
      - .offset:         48
        .size:           8
        .value_kind:     by_value
      - .offset:         56
        .size:           4
        .value_kind:     by_value
      - .address_space:  global
        .offset:         64
        .size:           8
        .value_kind:     global_buffer
    .group_segment_fixed_size: 0
    .kernarg_segment_align: 8
    .kernarg_segment_size: 72
    .language:       OpenCL C
    .language_version:
      - 2
      - 0
    .max_flat_workgroup_size: 1024
    .name:           _ZN12_GLOBAL__N_129calculator_inverse_diagonal_tI21rocsparse_complex_numIdEllE23kernel_inverse_diagonalILj1024ELb0EEEvlPKlPKS2_21rocsparse_index_base_PS2_S6_lS9_Pi
    .private_segment_fixed_size: 0
    .sgpr_count:     14
    .sgpr_spill_count: 0
    .symbol:         _ZN12_GLOBAL__N_129calculator_inverse_diagonal_tI21rocsparse_complex_numIdEllE23kernel_inverse_diagonalILj1024ELb0EEEvlPKlPKS2_21rocsparse_index_base_PS2_S6_lS9_Pi.kd
    .uniform_work_group_size: 1
    .uses_dynamic_stack: false
    .vgpr_count:     16
    .vgpr_spill_count: 0
    .wavefront_size: 32
  - .args:
      - .offset:         0
        .size:           8
        .value_kind:     by_value
      - .actual_access:  read_only
        .address_space:  global
        .offset:         8
        .size:           8
        .value_kind:     global_buffer
      - .actual_access:  read_only
        .address_space:  global
        .offset:         16
        .size:           8
        .value_kind:     global_buffer
      - .offset:         24
        .size:           4
        .value_kind:     by_value
      - .actual_access:  write_only
        .address_space:  global
        .offset:         32
        .size:           8
        .value_kind:     global_buffer
      - .actual_access:  read_only
        .address_space:  global
        .offset:         40
        .size:           8
        .value_kind:     global_buffer
      - .offset:         48
        .size:           8
        .value_kind:     by_value
      - .offset:         56
        .size:           4
        .value_kind:     by_value
      - .address_space:  global
        .offset:         64
        .size:           8
        .value_kind:     global_buffer
    .group_segment_fixed_size: 0
    .kernarg_segment_align: 8
    .kernarg_segment_size: 72
    .language:       OpenCL C
    .language_version:
      - 2
      - 0
    .max_flat_workgroup_size: 1024
    .name:           _ZN12_GLOBAL__N_129calculator_inverse_diagonal_tI21rocsparse_complex_numIdEllE23kernel_inverse_diagonalILj1024ELb1EEEvlPKlPKS2_21rocsparse_index_base_PS2_S6_lS9_Pi
    .private_segment_fixed_size: 0
    .sgpr_count:     14
    .sgpr_spill_count: 0
    .symbol:         _ZN12_GLOBAL__N_129calculator_inverse_diagonal_tI21rocsparse_complex_numIdEllE23kernel_inverse_diagonalILj1024ELb1EEEvlPKlPKS2_21rocsparse_index_base_PS2_S6_lS9_Pi.kd
    .uniform_work_group_size: 1
    .uses_dynamic_stack: false
    .vgpr_count:     16
    .vgpr_spill_count: 0
    .wavefront_size: 32
  - .args:
      - .offset:         0
        .size:           8
        .value_kind:     by_value
      - .actual_access:  read_only
        .address_space:  global
        .offset:         8
        .size:           8
        .value_kind:     global_buffer
      - .address_space:  global
        .offset:         16
        .size:           8
        .value_kind:     global_buffer
      - .actual_access:  read_only
        .address_space:  global
        .offset:         24
        .size:           8
        .value_kind:     global_buffer
    .group_segment_fixed_size: 0
    .kernarg_segment_align: 8
    .kernarg_segment_size: 32
    .language:       OpenCL C
    .language_version:
      - 2
      - 0
    .max_flat_workgroup_size: 1024
    .name:           _ZN9rocsparseL26kernel_add_scaled_residualILj1024El21rocsparse_complex_numIdEEEvT0_PKT1_PS4_S6_
    .private_segment_fixed_size: 0
    .sgpr_count:     10
    .sgpr_spill_count: 0
    .symbol:         _ZN9rocsparseL26kernel_add_scaled_residualILj1024El21rocsparse_complex_numIdEEEvT0_PKT1_PS4_S6_.kd
    .uniform_work_group_size: 1
    .uses_dynamic_stack: false
    .vgpr_count:     16
    .vgpr_spill_count: 0
    .wavefront_size: 32
amdhsa.target:   amdgcn-amd-amdhsa--gfx1250
amdhsa.version:
  - 1
  - 2
...

	.end_amdgpu_metadata
